;; amdgpu-corpus repo=ROCm/rocFFT kind=compiled arch=gfx950 opt=O3
	.text
	.amdgcn_target "amdgcn-amd-amdhsa--gfx950"
	.amdhsa_code_object_version 6
	.protected	fft_rtc_fwd_len1496_factors_17_8_11_wgs_187_tpt_187_halfLds_sp_ip_CI_sbrr_dirReg ; -- Begin function fft_rtc_fwd_len1496_factors_17_8_11_wgs_187_tpt_187_halfLds_sp_ip_CI_sbrr_dirReg
	.globl	fft_rtc_fwd_len1496_factors_17_8_11_wgs_187_tpt_187_halfLds_sp_ip_CI_sbrr_dirReg
	.p2align	8
	.type	fft_rtc_fwd_len1496_factors_17_8_11_wgs_187_tpt_187_halfLds_sp_ip_CI_sbrr_dirReg,@function
fft_rtc_fwd_len1496_factors_17_8_11_wgs_187_tpt_187_halfLds_sp_ip_CI_sbrr_dirReg: ; @fft_rtc_fwd_len1496_factors_17_8_11_wgs_187_tpt_187_halfLds_sp_ip_CI_sbrr_dirReg
; %bb.0:
	s_load_dwordx2 s[12:13], s[0:1], 0x18
	s_load_dwordx4 s[4:7], s[0:1], 0x0
	s_load_dwordx2 s[10:11], s[0:1], 0x50
	v_mul_u32_u24_e32 v1, 0x15f, v0
	v_add_u32_sdwa v6, s2, v1 dst_sel:DWORD dst_unused:UNUSED_PAD src0_sel:DWORD src1_sel:WORD_1
	s_waitcnt lgkmcnt(0)
	s_load_dwordx2 s[8:9], s[12:13], 0x0
	v_mov_b32_e32 v4, 0
	v_cmp_lt_u64_e64 s[2:3], s[6:7], 2
	v_mov_b32_e32 v7, v4
	s_and_b64 vcc, exec, s[2:3]
	v_mov_b64_e32 v[2:3], 0
	s_cbranch_vccnz .LBB0_8
; %bb.1:
	s_load_dwordx2 s[2:3], s[0:1], 0x10
	s_add_u32 s14, s12, 8
	s_addc_u32 s15, s13, 0
	s_mov_b64 s[16:17], 1
	v_mov_b64_e32 v[2:3], 0
	s_waitcnt lgkmcnt(0)
	s_add_u32 s18, s2, 8
	s_addc_u32 s19, s3, 0
.LBB0_2:                                ; =>This Inner Loop Header: Depth=1
	s_load_dwordx2 s[20:21], s[18:19], 0x0
                                        ; implicit-def: $vgpr8_vgpr9
	s_waitcnt lgkmcnt(0)
	v_or_b32_e32 v5, s21, v7
	v_cmp_ne_u64_e32 vcc, 0, v[4:5]
	s_and_saveexec_b64 s[2:3], vcc
	s_xor_b64 s[22:23], exec, s[2:3]
	s_cbranch_execz .LBB0_4
; %bb.3:                                ;   in Loop: Header=BB0_2 Depth=1
	v_cvt_f32_u32_e32 v1, s20
	v_cvt_f32_u32_e32 v5, s21
	s_sub_u32 s2, 0, s20
	s_subb_u32 s3, 0, s21
	v_fmac_f32_e32 v1, 0x4f800000, v5
	v_rcp_f32_e32 v1, v1
	s_nop 0
	v_mul_f32_e32 v1, 0x5f7ffffc, v1
	v_mul_f32_e32 v5, 0x2f800000, v1
	v_trunc_f32_e32 v5, v5
	v_fmac_f32_e32 v1, 0xcf800000, v5
	v_cvt_u32_f32_e32 v5, v5
	v_cvt_u32_f32_e32 v1, v1
	v_mul_lo_u32 v8, s2, v5
	v_mul_hi_u32 v10, s2, v1
	v_mul_lo_u32 v9, s3, v1
	v_add_u32_e32 v10, v10, v8
	v_mul_lo_u32 v12, s2, v1
	v_add_u32_e32 v13, v10, v9
	v_mul_hi_u32 v8, v1, v12
	v_mul_hi_u32 v11, v1, v13
	v_mul_lo_u32 v10, v1, v13
	v_mov_b32_e32 v9, v4
	v_lshl_add_u64 v[8:9], v[8:9], 0, v[10:11]
	v_mul_hi_u32 v11, v5, v12
	v_mul_lo_u32 v12, v5, v12
	v_add_co_u32_e32 v8, vcc, v8, v12
	v_mul_hi_u32 v10, v5, v13
	s_nop 0
	v_addc_co_u32_e32 v8, vcc, v9, v11, vcc
	v_mov_b32_e32 v9, v4
	s_nop 0
	v_addc_co_u32_e32 v11, vcc, 0, v10, vcc
	v_mul_lo_u32 v10, v5, v13
	v_lshl_add_u64 v[8:9], v[8:9], 0, v[10:11]
	v_add_co_u32_e32 v1, vcc, v1, v8
	v_mul_lo_u32 v10, s2, v1
	s_nop 0
	v_addc_co_u32_e32 v5, vcc, v5, v9, vcc
	v_mul_lo_u32 v8, s2, v5
	v_mul_hi_u32 v9, s2, v1
	v_add_u32_e32 v8, v9, v8
	v_mul_lo_u32 v9, s3, v1
	v_add_u32_e32 v12, v8, v9
	v_mul_hi_u32 v14, v5, v10
	v_mul_lo_u32 v15, v5, v10
	v_mul_hi_u32 v9, v1, v12
	v_mul_lo_u32 v8, v1, v12
	v_mul_hi_u32 v10, v1, v10
	v_mov_b32_e32 v11, v4
	v_lshl_add_u64 v[8:9], v[10:11], 0, v[8:9]
	v_add_co_u32_e32 v8, vcc, v8, v15
	v_mul_hi_u32 v13, v5, v12
	s_nop 0
	v_addc_co_u32_e32 v8, vcc, v9, v14, vcc
	v_mul_lo_u32 v10, v5, v12
	s_nop 0
	v_addc_co_u32_e32 v11, vcc, 0, v13, vcc
	v_mov_b32_e32 v9, v4
	v_lshl_add_u64 v[8:9], v[8:9], 0, v[10:11]
	v_add_co_u32_e32 v1, vcc, v1, v8
	v_mul_hi_u32 v10, v6, v1
	s_nop 0
	v_addc_co_u32_e32 v5, vcc, v5, v9, vcc
	v_mad_u64_u32 v[8:9], s[2:3], v6, v5, 0
	v_mov_b32_e32 v11, v4
	v_lshl_add_u64 v[8:9], v[10:11], 0, v[8:9]
	v_mad_u64_u32 v[12:13], s[2:3], v7, v1, 0
	v_add_co_u32_e32 v1, vcc, v8, v12
	v_mad_u64_u32 v[10:11], s[2:3], v7, v5, 0
	s_nop 0
	v_addc_co_u32_e32 v8, vcc, v9, v13, vcc
	v_mov_b32_e32 v9, v4
	s_nop 0
	v_addc_co_u32_e32 v11, vcc, 0, v11, vcc
	v_lshl_add_u64 v[8:9], v[8:9], 0, v[10:11]
	v_mul_lo_u32 v1, s21, v8
	v_mul_lo_u32 v5, s20, v9
	v_mad_u64_u32 v[10:11], s[2:3], s20, v8, 0
	v_add3_u32 v1, v11, v5, v1
	v_sub_u32_e32 v5, v7, v1
	v_mov_b32_e32 v11, s21
	v_sub_co_u32_e32 v14, vcc, v6, v10
	v_lshl_add_u64 v[12:13], v[8:9], 0, 1
	s_nop 0
	v_subb_co_u32_e64 v5, s[2:3], v5, v11, vcc
	v_subrev_co_u32_e64 v10, s[2:3], s20, v14
	v_subb_co_u32_e32 v1, vcc, v7, v1, vcc
	s_nop 0
	v_subbrev_co_u32_e64 v5, s[2:3], 0, v5, s[2:3]
	v_cmp_le_u32_e64 s[2:3], s21, v5
	v_cmp_le_u32_e32 vcc, s21, v1
	s_nop 0
	v_cndmask_b32_e64 v11, 0, -1, s[2:3]
	v_cmp_le_u32_e64 s[2:3], s20, v10
	s_nop 1
	v_cndmask_b32_e64 v10, 0, -1, s[2:3]
	v_cmp_eq_u32_e64 s[2:3], s21, v5
	s_nop 1
	v_cndmask_b32_e64 v5, v11, v10, s[2:3]
	v_lshl_add_u64 v[10:11], v[8:9], 0, 2
	v_cmp_ne_u32_e64 s[2:3], 0, v5
	s_nop 1
	v_cndmask_b32_e64 v5, v13, v11, s[2:3]
	v_cndmask_b32_e64 v11, 0, -1, vcc
	v_cmp_le_u32_e32 vcc, s20, v14
	s_nop 1
	v_cndmask_b32_e64 v13, 0, -1, vcc
	v_cmp_eq_u32_e32 vcc, s21, v1
	s_nop 1
	v_cndmask_b32_e32 v1, v11, v13, vcc
	v_cmp_ne_u32_e32 vcc, 0, v1
	v_cndmask_b32_e64 v1, v12, v10, s[2:3]
	s_nop 0
	v_cndmask_b32_e32 v9, v9, v5, vcc
	v_cndmask_b32_e32 v8, v8, v1, vcc
.LBB0_4:                                ;   in Loop: Header=BB0_2 Depth=1
	s_andn2_saveexec_b64 s[2:3], s[22:23]
	s_cbranch_execz .LBB0_6
; %bb.5:                                ;   in Loop: Header=BB0_2 Depth=1
	v_cvt_f32_u32_e32 v1, s20
	s_sub_i32 s22, 0, s20
	v_rcp_iflag_f32_e32 v1, v1
	s_nop 0
	v_mul_f32_e32 v1, 0x4f7ffffe, v1
	v_cvt_u32_f32_e32 v1, v1
	v_mul_lo_u32 v5, s22, v1
	v_mul_hi_u32 v5, v1, v5
	v_add_u32_e32 v1, v1, v5
	v_mul_hi_u32 v1, v6, v1
	v_mul_lo_u32 v5, v1, s20
	v_sub_u32_e32 v5, v6, v5
	v_add_u32_e32 v8, 1, v1
	v_subrev_u32_e32 v9, s20, v5
	v_cmp_le_u32_e32 vcc, s20, v5
	s_nop 1
	v_cndmask_b32_e32 v5, v5, v9, vcc
	v_cndmask_b32_e32 v1, v1, v8, vcc
	v_add_u32_e32 v8, 1, v1
	v_cmp_le_u32_e32 vcc, s20, v5
	v_mov_b32_e32 v9, v4
	s_nop 0
	v_cndmask_b32_e32 v8, v1, v8, vcc
.LBB0_6:                                ;   in Loop: Header=BB0_2 Depth=1
	s_or_b64 exec, exec, s[2:3]
	v_mad_u64_u32 v[10:11], s[2:3], v8, s20, 0
	s_load_dwordx2 s[2:3], s[14:15], 0x0
	v_mul_lo_u32 v1, v9, s20
	v_mul_lo_u32 v5, v8, s21
	v_add3_u32 v1, v11, v5, v1
	v_sub_co_u32_e32 v5, vcc, v6, v10
	s_add_u32 s16, s16, 1
	s_nop 0
	v_subb_co_u32_e32 v1, vcc, v7, v1, vcc
	s_addc_u32 s17, s17, 0
	s_waitcnt lgkmcnt(0)
	v_mul_lo_u32 v1, s2, v1
	v_mul_lo_u32 v6, s3, v5
	v_mad_u64_u32 v[2:3], s[2:3], s2, v5, v[2:3]
	s_add_u32 s14, s14, 8
	v_add3_u32 v3, v6, v3, v1
	s_addc_u32 s15, s15, 0
	v_mov_b64_e32 v[6:7], s[6:7]
	s_add_u32 s18, s18, 8
	v_cmp_ge_u64_e32 vcc, s[16:17], v[6:7]
	s_addc_u32 s19, s19, 0
	s_cbranch_vccnz .LBB0_9
; %bb.7:                                ;   in Loop: Header=BB0_2 Depth=1
	v_mov_b64_e32 v[6:7], v[8:9]
	s_branch .LBB0_2
.LBB0_8:
	v_mov_b64_e32 v[8:9], v[6:7]
.LBB0_9:
	s_lshl_b64 s[2:3], s[6:7], 3
	s_add_u32 s2, s12, s2
	s_addc_u32 s3, s13, s3
	s_load_dwordx2 s[6:7], s[2:3], 0x0
	s_load_dwordx2 s[12:13], s[0:1], 0x20
	v_mov_b32_e32 v6, 0
	v_mov_b32_e32 v7, v6
                                        ; implicit-def: $vgpr10
                                        ; implicit-def: $vgpr22
                                        ; implicit-def: $vgpr26
                                        ; implicit-def: $vgpr18
                                        ; implicit-def: $vgpr36
                                        ; implicit-def: $vgpr40
                                        ; implicit-def: $vgpr32
                                        ; implicit-def: $vgpr44
                                        ; implicit-def: $vgpr38
                                        ; implicit-def: $vgpr46
                                        ; implicit-def: $vgpr42
                                        ; implicit-def: $vgpr16
                                        ; implicit-def: $vgpr48
	s_waitcnt lgkmcnt(0)
	v_mad_u64_u32 v[2:3], s[0:1], s6, v8, v[2:3]
	v_mul_lo_u32 v1, s6, v9
	v_mul_lo_u32 v4, s7, v8
	s_mov_b32 s0, 0x15e75bc
	v_add3_u32 v3, v4, v3, v1
	v_mul_hi_u32 v1, v0, s0
	v_mul_u32_u24_e32 v1, 0xbb, v1
	v_sub_u32_e32 v130, v0, v1
	s_movk_i32 s0, 0x58
	v_cmp_gt_u64_e32 vcc, s[12:13], v[8:9]
	v_cmp_gt_u32_e64 s[0:1], s0, v130
	s_and_b64 s[6:7], vcc, s[0:1]
	v_lshl_add_u64 v[0:1], v[2:3], 3, s[10:11]
                                        ; implicit-def: $vgpr4
                                        ; implicit-def: $vgpr2
                                        ; implicit-def: $vgpr8
	s_and_saveexec_b64 s[2:3], s[6:7]
	s_cbranch_execz .LBB0_11
; %bb.10:
	v_mad_u64_u32 v[2:3], s[6:7], s8, v130, 0
	v_mov_b32_e32 v4, v3
	v_mad_u64_u32 v[4:5], s[6:7], s9, v130, v[4:5]
	v_mov_b32_e32 v3, v4
	v_lshl_add_u64 v[2:3], v[2:3], 3, v[0:1]
	v_add_u32_e32 v5, 0x58, v130
	global_load_dwordx2 v[6:7], v[2:3], off
	v_mad_u64_u32 v[2:3], s[6:7], s8, v5, 0
	v_mov_b32_e32 v4, v3
	v_mad_u64_u32 v[4:5], s[6:7], s9, v5, v[4:5]
	v_mov_b32_e32 v3, v4
	v_add_u32_e32 v5, 0xb0, v130
	v_lshl_add_u64 v[12:13], v[2:3], 3, v[0:1]
	v_mad_u64_u32 v[2:3], s[6:7], s8, v5, 0
	v_mov_b32_e32 v4, v3
	v_mad_u64_u32 v[4:5], s[6:7], s9, v5, v[4:5]
	v_mov_b32_e32 v3, v4
	v_add_u32_e32 v5, 0x108, v130
	v_lshl_add_u64 v[14:15], v[2:3], 3, v[0:1]
	;; [unrolled: 6-line block ×13, first 2 shown]
	v_mad_u64_u32 v[2:3], s[6:7], s8, v5, 0
	v_mov_b32_e32 v4, v3
	v_mad_u64_u32 v[4:5], s[6:7], s9, v5, v[4:5]
	v_mov_b32_e32 v3, v4
	v_lshl_add_u64 v[52:53], v[2:3], 3, v[0:1]
	global_load_dwordx2 v[4:5], v[10:11], off
	global_load_dwordx2 v[18:19], v[16:17], off
	;; [unrolled: 1-line block ×9, first 2 shown]
	v_add_u32_e32 v17, 0x528, v130
	v_mad_u64_u32 v[10:11], s[6:7], s8, v17, 0
	v_mov_b32_e32 v16, v11
	v_mad_u64_u32 v[16:17], s[6:7], s9, v17, v[16:17]
	v_mov_b32_e32 v11, v16
	v_lshl_add_u64 v[10:11], v[10:11], 3, v[0:1]
	v_or_b32_e32 v17, 0x580, v130
	global_load_dwordx2 v[40:41], v[48:49], off
	global_load_dwordx2 v[36:37], v[50:51], off
	;; [unrolled: 1-line block ×4, first 2 shown]
	v_mad_u64_u32 v[10:11], s[6:7], s8, v17, 0
	v_mov_b32_e32 v16, v11
	v_mad_u64_u32 v[16:17], s[6:7], s9, v17, v[16:17]
	v_mov_b32_e32 v11, v16
	v_lshl_add_u64 v[20:21], v[10:11], 3, v[0:1]
	global_load_dwordx2 v[10:11], v[14:15], off
	global_load_dwordx2 v[16:17], v[12:13], off
	;; [unrolled: 1-line block ×3, first 2 shown]
.LBB0_11:
	s_or_b64 exec, exec, s[2:3]
	s_waitcnt vmcnt(1)
	v_pk_add_f32 v[12:13], v[6:7], v[16:17]
	s_waitcnt vmcnt(0)
	v_pk_add_f32 v[64:65], v[16:17], v[48:49]
	v_pk_add_f32 v[12:13], v[12:13], v[10:11]
	v_pk_add_f32 v[14:15], v[16:17], v[48:49] neg_lo:[0,1] neg_hi:[0,1]
	s_mov_b32 s7, 0xbe3c28d5
	v_pk_add_f32 v[20:21], v[12:13], v[4:5]
	v_mov_b32_e32 v76, v64
	v_mov_b32_e32 v77, v15
	v_pk_add_f32 v[52:53], v[10:11], v[22:23]
	v_pk_add_f32 v[12:13], v[10:11], v[22:23] neg_lo:[0,1] neg_hi:[0,1]
	s_mov_b32 s2, 0xbf7ba420
	s_mov_b32 s16, 0xbf59a7d5
	;; [unrolled: 1-line block ×4, first 2 shown]
	v_mov_b32_e32 v80, v52
	v_mov_b32_e32 v81, v13
	v_pk_add_f32 v[50:51], v[4:5], v[26:27]
	v_pk_add_f32 v[10:11], v[4:5], v[26:27] neg_lo:[0,1] neg_hi:[0,1]
	s_mov_b32 s3, 0xbf06c442
	v_pk_mul_f32 v[4:5], v[76:77], s[16:17]
	s_mov_b32 s12, 0x3f6eb680
	s_mov_b32 s21, 0x3eb8f4ab
	;; [unrolled: 1-line block ×3, first 2 shown]
	v_pk_fma_f32 v[24:25], v[76:77], s[2:3], v[4:5] op_sel:[0,0,1] op_sel_hi:[1,1,0] neg_lo:[0,0,1] neg_hi:[0,0,1]
	v_pk_fma_f32 v[66:67], v[76:77], s[2:3], v[4:5] op_sel:[0,0,1] op_sel_hi:[1,1,0]
	s_mov_b32 s13, 0x3f65296c
	v_pk_mul_f32 v[96:97], v[80:81], s[20:21]
	v_mov_b32_e32 v25, v67
	v_pk_fma_f32 v[28:29], v[80:81], s[12:13], v[96:97] op_sel:[0,0,1] op_sel_hi:[1,1,0] neg_lo:[0,0,1] neg_hi:[0,0,1]
	v_pk_fma_f32 v[68:69], v[80:81], s[12:13], v[96:97] op_sel:[0,0,1] op_sel_hi:[1,1,0]
	v_mov_b32_e32 v90, v50
	v_mov_b32_e32 v91, v11
	s_mov_b32 s10, 0x3dbcf732
	s_mov_b32 s11, s3
	;; [unrolled: 1-line block ×3, first 2 shown]
	v_pk_add_f32 v[24:25], v[6:7], v[24:25] op_sel_hi:[0,1]
	v_mov_b32_e32 v29, v69
	s_mov_b32 s17, 0xbf7ee86f
	v_pk_mul_f32 v[92:93], v[90:91], s[10:11]
	v_pk_add_f32 v[20:21], v[20:21], v[18:19]
	v_pk_add_f32 v[54:55], v[18:19], v[36:37]
	v_pk_add_f32 v[18:19], v[18:19], v[36:37] neg_lo:[0,1] neg_hi:[0,1]
	s_mov_b32 s15, 0x3f2c7751
	v_pk_add_f32 v[24:25], v[24:25], v[28:29]
	v_pk_fma_f32 v[28:29], v[90:91], s[16:17], v[92:93] op_sel:[0,0,1] op_sel_hi:[1,1,0] neg_lo:[0,0,1] neg_hi:[0,0,1]
	v_pk_fma_f32 v[70:71], v[90:91], s[16:17], v[92:93] op_sel:[0,0,1] op_sel_hi:[1,1,0]
	v_mov_b32_e32 v94, v54
	v_mov_b32_e32 v95, v19
	s_mov_b32 s18, 0x3f3d2fb0
	s_mov_b32 s22, 0xbf1a4643
	;; [unrolled: 1-line block ×3, first 2 shown]
	v_pk_add_f32 v[62:63], v[20:21], v[2:3]
	v_pk_add_f32 v[56:57], v[2:3], v[40:41]
	v_pk_add_f32 v[20:21], v[2:3], v[40:41] neg_lo:[0,1] neg_hi:[0,1]
	v_mov_b32_e32 v29, v71
	s_mov_b32 s19, 0x3f4c4adb
	v_pk_mul_f32 v[98:99], v[94:95], s[22:23]
	v_mov_b32_e32 v100, v56
	v_mov_b32_e32 v101, v21
	s_mov_b32 s25, 0xbf4c4adb
	s_mov_b32 s24, s12
	v_pk_add_f32 v[24:25], v[24:25], v[28:29]
	v_pk_fma_f32 v[28:29], v[94:95], s[18:19], v[98:99] op_sel:[0,0,1] op_sel_hi:[1,1,0] neg_lo:[0,0,1] neg_hi:[0,0,1]
	v_pk_fma_f32 v[72:73], v[94:95], s[18:19], v[98:99] op_sel:[0,0,1] op_sel_hi:[1,1,0]
	s_mov_b32 s23, 0xbeb8f4ab
	v_pk_mul_f32 v[104:105], v[100:101], s[24:25]
	v_pk_add_f32 v[58:59], v[8:9], v[32:33]
	v_pk_add_f32 v[34:35], v[8:9], v[32:33] neg_lo:[0,1] neg_hi:[0,1]
	v_mov_b32_e32 v29, v73
	v_pk_fma_f32 v[2:3], v[100:101], s[22:23], v[104:105] op_sel:[0,0,1] op_sel_hi:[1,1,0] neg_lo:[0,0,1] neg_hi:[0,0,1]
	v_pk_fma_f32 v[74:75], v[100:101], s[22:23], v[104:105] op_sel:[0,0,1] op_sel_hi:[1,1,0]
	v_mov_b32_e32 v102, v58
	v_mov_b32_e32 v103, v35
	s_mov_b32 s26, s2
	s_mov_b32 s27, s13
	v_pk_add_f32 v[24:25], v[24:25], v[28:29]
	v_mov_b32_e32 v3, v75
	v_pk_mul_f32 v[108:109], v[102:103], s[26:27]
	v_pk_add_f32 v[2:3], v[24:25], v[2:3]
	v_pk_fma_f32 v[24:25], v[102:103], s[6:7], v[108:109] op_sel:[0,0,1] op_sel_hi:[1,1,0] neg_lo:[0,0,1] neg_hi:[0,0,1]
	v_pk_fma_f32 v[78:79], v[102:103], s[6:7], v[108:109] op_sel:[0,0,1] op_sel_hi:[1,1,0]
	v_pk_add_f32 v[60:61], v[44:45], v[38:39]
	v_mov_b32_e32 v25, v79
	v_pk_add_f32 v[2:3], v[2:3], v[24:25]
	v_pk_add_f32 v[24:25], v[44:45], v[38:39] neg_lo:[0,1] neg_hi:[0,1]
	s_mov_b32 s11, 0xbf763a35
	v_mov_b32_e32 v106, v60
	v_mov_b32_e32 v107, v25
	s_mov_b32 s26, s18
	s_mov_b32 s27, s11
	v_pk_mul_f32 v[112:113], v[106:107], s[26:27]
	v_add_f32_e32 v5, v6, v66
	v_pk_fma_f32 v[28:29], v[106:107], s[14:15], v[112:113] op_sel:[0,0,1] op_sel_hi:[1,1,0] neg_lo:[0,0,1] neg_hi:[0,0,1]
	v_pk_fma_f32 v[82:83], v[106:107], s[14:15], v[112:113] op_sel:[0,0,1] op_sel_hi:[1,1,0]
	v_add_f32_e32 v5, v5, v68
	v_mov_b32_e32 v29, v83
	v_pk_add_f32 v[2:3], v[2:3], v[28:29]
	v_pk_add_f32 v[28:29], v[46:47], v[42:43]
	v_pk_add_f32 v[30:31], v[46:47], v[42:43] neg_lo:[0,1] neg_hi:[0,1]
	v_add_f32_e32 v5, v5, v70
	v_mov_b32_e32 v110, v28
	v_mov_b32_e32 v111, v31
	s_mov_b32 s27, 0x3f7ee86f
	s_mov_b32 s26, s14
	v_add_f32_e32 v5, v5, v72
	v_pk_mul_f32 v[114:115], v[110:111], s[26:27]
	v_add_f32_e32 v5, v5, v74
	v_pk_fma_f32 v[84:85], v[110:111], s[10:11], v[114:115] op_sel:[0,0,1] op_sel_hi:[1,1,0] neg_lo:[0,0,1] neg_hi:[0,0,1]
	v_pk_fma_f32 v[86:87], v[110:111], s[10:11], v[114:115] op_sel:[0,0,1] op_sel_hi:[1,1,0]
	v_add_f32_e32 v5, v5, v78
	v_mov_b32_e32 v85, v87
	v_add_f32_e32 v5, v5, v82
	v_pk_add_f32 v[2:3], v[2:3], v[84:85]
	v_add_f32_e32 v5, v5, v86
	s_and_saveexec_b64 s[28:29], s[0:1]
	s_cbranch_execz .LBB0_13
; %bb.12:
	s_mov_b32 s34, 0xbf2c7751
	s_mov_b32 s38, s12
	;; [unrolled: 1-line block ×4, first 2 shown]
	v_pk_mul_f32 v[88:89], v[76:77], s[38:39]
	s_mov_b32 s40, s18
	s_mov_b32 s41, s34
	v_pk_add_f32 v[122:123], v[62:63], v[8:9]
	v_pk_mul_f32 v[84:85], v[14:15], s[34:35] op_sel:[1,0]
	v_pk_mul_f32 v[86:87], v[80:81], s[40:41]
	s_mov_b32 s34, s6
	v_mov_b32_e32 v93, v88
	v_pk_add_f32 v[122:123], v[122:123], v[44:45]
	v_pk_mul_f32 v[82:83], v[90:91], s[34:35]
	s_mov_b32 s42, s10
	s_mov_b32 s43, s17
	v_pk_fma_f32 v[116:117], v[76:77], s[38:39], v[92:93] neg_lo:[1,0,0] neg_hi:[1,0,0]
	v_mov_b32_e32 v93, v86
	v_pk_add_f32 v[122:123], v[122:123], v[46:47]
	v_pk_mul_f32 v[78:79], v[94:95], s[42:43]
	s_mov_b32 s44, s14
	s_mov_b32 s45, s11
	v_pk_fma_f32 v[118:119], v[80:81], s[40:41], v[92:93] neg_lo:[1,0,0] neg_hi:[1,0,0]
	v_mov_b32_e32 v93, v82
	v_mov_b32_e32 v123, v117
	;; [unrolled: 1-line block ×4, first 2 shown]
	v_pk_mul_f32 v[74:75], v[100:101], s[44:45]
	s_mov_b32 s24, s22
	v_pk_fma_f32 v[120:121], v[90:91], s[34:35], v[92:93] neg_lo:[1,0,0] neg_hi:[1,0,0]
	v_pk_add_f32 v[116:117], v[122:123], v[116:117]
	v_mov_b32_e32 v93, v78
	v_mov_b32_e32 v118, v38
	v_pk_mul_f32 v[72:73], v[102:103], s[24:25]
	s_mov_b32 s46, s16
	s_mov_b32 s47, s3
	v_pk_fma_f32 v[122:123], v[94:95], s[42:43], v[92:93] neg_lo:[1,0,0] neg_hi:[1,0,0]
	v_pk_add_f32 v[116:117], v[118:119], v[116:117]
	v_mov_b32_e32 v93, v74
	v_mov_b32_e32 v120, v32
	v_pk_mul_f32 v[70:71], v[106:107], s[46:47]
	s_mov_b32 s48, s2
	s_mov_b32 s49, s7
	v_pk_fma_f32 v[118:119], v[100:101], s[44:45], v[92:93] neg_lo:[1,0,0] neg_hi:[1,0,0]
	v_pk_add_f32 v[116:117], v[120:121], v[116:117]
	v_mov_b32_e32 v93, v72
	v_mov_b32_e32 v122, v40
	v_pk_mul_f32 v[68:69], v[110:111], s[48:49]
	v_pk_fma_f32 v[120:121], v[102:103], s[24:25], v[92:93] neg_lo:[1,0,0] neg_hi:[1,0,0]
	v_pk_add_f32 v[116:117], v[122:123], v[116:117]
	v_mov_b32_e32 v93, v70
	v_mov_b32_e32 v118, v36
	v_pk_fma_f32 v[122:123], v[106:107], s[46:47], v[92:93] neg_lo:[1,0,0] neg_hi:[1,0,0]
	v_pk_add_f32 v[116:117], v[118:119], v[116:117]
	v_mov_b32_e32 v93, v68
	v_mov_b32_e32 v120, v26
	v_pk_fma_f32 v[118:119], v[110:111], s[48:49], v[92:93] neg_lo:[1,0,0] neg_hi:[1,0,0]
	v_pk_add_f32 v[116:117], v[120:121], v[116:117]
	v_mov_b32_e32 v122, v22
	s_movk_i32 s20, 0x44
	v_pk_add_f32 v[116:117], v[122:123], v[116:117]
	v_mov_b32_e32 v118, v48
	s_mov_b32 s36, s18
	s_mov_b32 s37, s6
	v_mad_u32_u24 v8, v130, s20, 0
	v_pk_add_f32 v[116:117], v[118:119], v[116:117]
	s_mov_b32 s24, s17
	v_mov_b32_e32 v66, v6
	v_mov_b32_e32 v67, v6
	ds_write2_b32 v8, v116, v117 offset1:1
	s_mov_b32 s40, s10
	s_mov_b32 s41, s22
	v_pk_mul_f32 v[116:117], v[12:13], s[24:25] op_sel:[1,0]
	s_mov_b32 s39, 0x3e3c28d5
	s_mov_b32 s38, s25
	v_pk_fma_f32 v[120:121], v[64:65], s[36:37], v[84:85] op_sel_hi:[0,1,1] neg_lo:[0,0,1] neg_hi:[0,0,1]
	s_mov_b32 s42, s22
	s_mov_b32 s43, s2
	v_pk_mul_f32 v[118:119], v[10:11], s[38:39] op_sel:[1,0]
	v_pk_add_f32 v[120:121], v[66:67], v[120:121]
	v_pk_fma_f32 v[122:123], v[52:53], s[40:41], v[116:117] op_sel_hi:[0,1,1] neg_lo:[0,0,1] neg_hi:[0,0,1]
	s_mov_b32 s31, 0x3f763a35
	s_mov_b32 s30, s7
	v_pk_add_f32 v[120:121], v[120:121], v[122:123]
	v_pk_fma_f32 v[122:123], v[50:51], s[42:43], v[118:119] op_sel_hi:[0,1,1] neg_lo:[0,0,1] neg_hi:[0,0,1]
	s_mov_b32 s44, s2
	s_mov_b32 s45, s14
	v_pk_add_f32 v[122:123], v[120:121], v[122:123]
	v_pk_mul_f32 v[120:121], v[18:19], s[30:31] op_sel:[1,0]
	s_mov_b32 s58, 0x3f06c442
	v_pk_fma_f32 v[124:125], v[54:55], s[44:45], v[120:121] op_sel_hi:[0,1,1] neg_lo:[0,0,1] neg_hi:[0,0,1]
	s_mov_b32 s59, s15
	v_pk_add_f32 v[124:125], v[122:123], v[124:125]
	s_mov_b32 s47, s18
	v_pk_mul_f32 v[122:123], v[20:21], s[58:59] op_sel:[1,0]
	s_mov_b32 s50, s31
	v_pk_fma_f32 v[126:127], v[56:57], s[46:47], v[122:123] op_sel_hi:[0,1,1] neg_lo:[0,0,1] neg_hi:[0,0,1]
	s_mov_b32 s51, s23
	v_pk_add_f32 v[126:127], v[124:125], v[126:127]
	s_mov_b32 s48, s14
	s_mov_b32 s49, s12
	v_pk_mul_f32 v[124:125], v[34:35], s[50:51] op_sel:[1,0]
	s_mov_b32 s52, s13
	v_pk_fma_f32 v[128:129], v[58:59], s[48:49], v[124:125] op_sel_hi:[0,1,1] neg_lo:[0,0,1] neg_hi:[0,0,1]
	s_mov_b32 s53, s17
	v_pk_add_f32 v[128:129], v[126:127], v[128:129]
	s_mov_b32 s50, s6
	;; [unrolled: 7-line block ×3, first 2 shown]
	s_mov_b32 s53, s16
	v_pk_mul_f32 v[128:129], v[30:31], s[54:55] op_sel:[1,0]
	s_mov_b32 s60, s17
	v_pk_fma_f32 v[134:135], v[28:29], s[52:53], v[128:129] op_sel_hi:[0,1,1] neg_lo:[0,0,1] neg_hi:[0,0,1]
	v_pk_add_f32 v[132:133], v[132:133], v[134:135]
	s_mov_b32 s61, s11
	ds_write2_b32 v8, v132, v133 offset0:2 offset1:3
	s_mov_b32 s56, s10
	s_mov_b32 s57, s14
	;; [unrolled: 1-line block ×4, first 2 shown]
	v_pk_mul_f32 v[132:133], v[14:15], s[60:61] op_sel:[1,0]
	s_mov_b32 s54, s2
	s_mov_b32 s55, s16
	v_pk_fma_f32 v[134:135], v[64:65], s[56:57], v[132:133] op_sel_hi:[0,1,1] neg_lo:[0,0,1] neg_hi:[0,0,1]
	v_pk_mul_f32 v[136:137], v[12:13], s[62:63] op_sel:[1,0]
	v_pk_add_f32 v[134:135], v[66:67], v[134:135]
	v_pk_fma_f32 v[138:139], v[52:53], s[54:55], v[136:137] op_sel_hi:[0,1,1] neg_lo:[0,0,1] neg_hi:[0,0,1]
	s_mov_b32 s58, s31
	v_pk_add_f32 v[134:135], v[134:135], v[138:139]
	s_mov_b32 s66, s14
	s_mov_b32 s67, s18
	v_pk_mul_f32 v[138:139], v[10:11], s[58:59] op_sel:[1,0]
	s_mov_b32 s34, s21
	v_pk_fma_f32 v[140:141], v[50:51], s[66:67], v[138:139] op_sel_hi:[0,1,1] neg_lo:[0,0,1] neg_hi:[0,0,1]
	v_pk_add_f32 v[134:135], v[134:135], v[140:141]
	s_mov_b32 s68, s12
	s_mov_b32 s69, s6
	v_pk_mul_f32 v[140:141], v[18:19], s[34:35] op_sel:[1,0]
	s_mov_b32 s58, s35
	v_pk_fma_f32 v[142:143], v[54:55], s[68:69], v[140:141] op_sel_hi:[0,1,1] neg_lo:[0,0,1] neg_hi:[0,0,1]
	s_mov_b32 s59, s7
	v_pk_add_f32 v[134:135], v[134:135], v[142:143]
	s_mov_b32 s64, s6
	s_mov_b32 s65, s2
	v_pk_mul_f32 v[142:143], v[20:21], s[58:59] op_sel:[1,0]
	s_mov_b32 s26, s3
	v_pk_fma_f32 v[144:145], v[56:57], s[64:65], v[142:143] op_sel_hi:[0,1,1] neg_lo:[0,0,1] neg_hi:[0,0,1]
	v_pk_add_f32 v[134:135], v[134:135], v[144:145]
	s_mov_b32 s62, s16
	s_mov_b32 s63, s10
	v_pk_mul_f32 v[144:145], v[34:35], s[26:27] op_sel:[1,0]
	s_mov_b32 s60, s19
	v_pk_fma_f32 v[146:147], v[58:59], s[62:63], v[144:145] op_sel_hi:[0,1,1] neg_lo:[0,0,1] neg_hi:[0,0,1]
	s_mov_b32 s61, s23
	v_pk_add_f32 v[134:135], v[134:135], v[146:147]
	s_mov_b32 s58, s22
	s_mov_b32 s59, s12
	v_pk_mul_f32 v[146:147], v[24:25], s[60:61] op_sel:[1,0]
	s_mov_b32 s24, s15
	v_pk_fma_f32 v[148:149], v[60:61], s[58:59], v[146:147] op_sel_hi:[0,1,1] neg_lo:[0,0,1] neg_hi:[0,0,1]
	v_pk_add_f32 v[134:135], v[134:135], v[148:149]
	s_mov_b32 s60, s18
	s_mov_b32 s61, s22
	v_pk_mul_f32 v[148:149], v[30:31], s[24:25] op_sel:[1,0]
	v_pk_mul_f32 v[76:77], v[76:77], s[2:3]
	v_pk_fma_f32 v[150:151], v[28:29], s[60:61], v[148:149] op_sel_hi:[0,1,1] neg_lo:[0,0,1] neg_hi:[0,0,1]
	v_pk_add_f32 v[134:135], v[134:135], v[150:151]
	ds_write2_b32 v8, v134, v135 offset0:4 offset1:5
	v_mov_b32_e32 v97, v4
	v_mov_b32_e32 v135, v96
	v_mul_f32_e32 v96, 0xbf1a4643, v64
	v_mul_f32_e32 v76, 0xbf4c4adb, v15
	v_pk_add_f32 v[150:151], v[96:97], v[76:77] neg_lo:[0,1] neg_hi:[0,1]
	v_mov_b32_e32 v77, v133
	v_pk_mul_f32 v[132:133], v[64:65], s[56:57] op_sel_hi:[0,1]
	v_pk_mul_f32 v[80:81], v[80:81], s[12:13]
	v_mov_b32_e32 v97, v133
	v_mul_f32_e32 v134, 0xbe8c1d8e, v52
	v_mul_f32_e32 v80, 0x3f763a35, v13
	v_pk_add_f32 v[76:77], v[76:77], v[96:97]
	v_pk_mul_f32 v[96:97], v[52:53], s[54:55] op_sel_hi:[0,1]
	v_pk_add_f32 v[152:153], v[134:135], v[80:81] neg_lo:[0,1] neg_hi:[0,1]
	v_mov_b32_e32 v81, v137
	v_mov_b32_e32 v135, v97
	v_pk_mul_f32 v[90:91], v[90:91], s[16:17]
	v_pk_add_f32 v[80:81], v[80:81], v[134:135]
	v_pk_add_f32 v[76:77], v[66:67], v[76:77]
	;; [unrolled: 1-line block ×3, first 2 shown]
	v_mov_b32_e32 v93, v92
	v_mul_f32_e32 v92, 0x3f6eb680, v50
	v_mul_f32_e32 v90, 0xbeb8f4ab, v11
	v_pk_add_f32 v[76:77], v[76:77], v[80:81]
	v_pk_mul_f32 v[80:81], v[50:51], s[66:67] op_sel_hi:[0,1]
	v_pk_add_f32 v[150:151], v[150:151], v[152:153]
	v_pk_add_f32 v[152:153], v[92:93], v[90:91] neg_lo:[0,1] neg_hi:[0,1]
	v_mov_b32_e32 v91, v139
	v_mov_b32_e32 v93, v81
	v_pk_mul_f32 v[94:95], v[94:95], s[18:19]
	v_pk_add_f32 v[80:81], v[90:91], v[92:93]
	v_mov_b32_e32 v99, v98
	v_mul_f32_e32 v98, 0xbf59a7d5, v54
	v_mul_f32_e32 v94, 0xbf06c442, v19
	v_pk_add_f32 v[76:77], v[76:77], v[80:81]
	v_pk_mul_f32 v[80:81], v[54:55], s[68:69] op_sel_hi:[0,1]
	v_pk_add_f32 v[150:151], v[150:151], v[152:153]
	v_pk_add_f32 v[152:153], v[98:99], v[94:95] neg_lo:[0,1] neg_hi:[0,1]
	v_mov_b32_e32 v95, v141
	v_mov_b32_e32 v99, v81
	v_pk_mul_f32 v[100:101], v[100:101], s[22:23]
	v_pk_add_f32 v[80:81], v[94:95], v[98:99]
	v_mov_b32_e32 v105, v104
	v_mul_f32_e32 v104, 0x3dbcf732, v56
	v_mul_f32_e32 v100, 0x3f7ee86f, v21
	v_pk_mul_f32 v[102:103], v[102:103], s[6:7]
	v_pk_add_f32 v[76:77], v[76:77], v[80:81]
	v_pk_mul_f32 v[80:81], v[56:57], s[64:65] op_sel_hi:[0,1]
	v_pk_add_f32 v[150:151], v[150:151], v[152:153]
	v_pk_add_f32 v[152:153], v[104:105], v[100:101] neg_lo:[0,1] neg_hi:[0,1]
	v_mov_b32_e32 v109, v108
	v_mul_f32_e32 v108, 0x3f3d2fb0, v58
	v_mul_f32_e32 v102, 0xbf2c7751, v35
	v_pk_mul_f32 v[106:107], v[106:107], s[14:15]
	v_mov_b32_e32 v101, v143
	v_mov_b32_e32 v105, v81
	v_pk_mul_f32 v[94:95], v[58:59], s[62:63] op_sel_hi:[0,1]
	v_pk_add_f32 v[150:151], v[150:151], v[152:153]
	v_pk_add_f32 v[152:153], v[108:109], v[102:103] neg_lo:[0,1] neg_hi:[0,1]
	v_mov_b32_e32 v113, v112
	v_mul_f32_e32 v112, 0xbf7ba420, v60
	v_mul_f32_e32 v106, 0xbe3c28d5, v25
	v_pk_add_f32 v[90:91], v[100:101], v[104:105]
	v_mov_b32_e32 v103, v145
	v_mov_b32_e32 v109, v95
	v_pk_mul_f32 v[100:101], v[60:61], s[58:59] op_sel_hi:[0,1]
	v_pk_add_f32 v[150:151], v[150:151], v[152:153]
	v_pk_add_f32 v[152:153], v[112:113], v[106:107] neg_lo:[0,1] neg_hi:[0,1]
	v_pk_add_f32 v[76:77], v[76:77], v[90:91]
	v_pk_add_f32 v[96:97], v[102:103], v[108:109]
	v_mov_b32_e32 v107, v147
	v_mov_b32_e32 v113, v101
	v_pk_mul_f32 v[110:111], v[110:111], s[10:11]
	v_pk_add_f32 v[76:77], v[76:77], v[96:97]
	v_pk_add_f32 v[102:103], v[106:107], v[112:113]
	v_mov_b32_e32 v115, v114
	v_mul_f32_e32 v114, 0x3ee437d1, v28
	v_mul_f32_e32 v110, 0x3f65296c, v31
	v_pk_add_f32 v[76:77], v[76:77], v[102:103]
	v_pk_mul_f32 v[102:103], v[28:29], s[60:61] op_sel_hi:[0,1]
	v_pk_add_f32 v[150:151], v[150:151], v[152:153]
	v_pk_add_f32 v[152:153], v[114:115], v[110:111] neg_lo:[0,1] neg_hi:[0,1]
	v_mov_b32_e32 v111, v149
	v_mov_b32_e32 v115, v103
	v_pk_mul_f32 v[80:81], v[64:65], s[36:37] op_sel_hi:[0,1]
	v_pk_add_f32 v[102:103], v[110:111], v[114:115]
	s_mov_b32 s36, s10
	v_pk_add_f32 v[150:151], v[150:151], v[152:153]
	v_pk_add_f32 v[76:77], v[76:77], v[102:103]
	s_mov_b32 s34, s17
	v_pk_mul_f32 v[64:65], v[64:65], s[36:37] op_sel_hi:[0,1]
	s_mov_b32 s36, s2
	s_mov_b32 s37, s22
	ds_write2_b32 v8, v150, v151 offset0:6 offset1:7
	ds_write2_b32 v8, v2, v5 offset0:8 offset1:9
	ds_write_b32 v8, v3 offset:40
	ds_write2_b32 v8, v76, v77 offset0:11 offset1:12
	v_pk_fma_f32 v[64:65], v[14:15], s[34:35], v[64:65] op_sel:[1,0,0]
	s_mov_b32 s24, s7
	v_pk_mul_f32 v[76:77], v[52:53], s[36:37] op_sel_hi:[0,1]
	v_pk_add_f32 v[64:65], v[66:67], v[64:65]
	v_pk_fma_f32 v[76:77], v[12:13], s[24:25], v[76:77] op_sel:[1,0,0]
	s_mov_b32 s36, s14
	s_mov_b32 s37, s2
	v_pk_add_f32 v[64:65], v[64:65], v[76:77]
	s_mov_b32 s38, s31
	v_pk_mul_f32 v[76:77], v[50:51], s[36:37] op_sel_hi:[0,1]
	v_pk_fma_f32 v[76:77], v[10:11], s[38:39], v[76:77] op_sel:[1,0,0]
	s_mov_b32 s36, s12
	s_mov_b32 s37, s14
	v_pk_add_f32 v[64:65], v[64:65], v[76:77]
	s_mov_b32 s30, s21
	v_pk_mul_f32 v[76:77], v[54:55], s[36:37] op_sel_hi:[0,1]
	v_pk_fma_f32 v[76:77], v[18:19], s[30:31], v[76:77] op_sel:[1,0,0]
	s_mov_b32 s30, s35
	s_mov_b32 s34, s6
	;; [unrolled: 1-line block ×3, first 2 shown]
	v_pk_add_f32 v[64:65], v[64:65], v[76:77]
	s_mov_b32 s31, s15
	v_pk_mul_f32 v[76:77], v[56:57], s[34:35] op_sel_hi:[0,1]
	v_pk_fma_f32 v[76:77], v[20:21], s[30:31], v[76:77] op_sel:[1,0,0]
	s_mov_b32 s34, s16
	s_mov_b32 s35, s12
	v_pk_add_f32 v[64:65], v[64:65], v[76:77]
	s_mov_b32 s30, s3
	s_mov_b32 s31, s23
	v_pk_mul_f32 v[76:77], v[58:59], s[34:35] op_sel_hi:[0,1]
	v_pk_fma_f32 v[76:77], v[34:35], s[30:31], v[76:77] op_sel:[1,0,0]
	s_mov_b32 s34, s22
	s_mov_b32 s35, s10
	v_pk_add_f32 v[64:65], v[64:65], v[76:77]
	s_mov_b32 s30, s19
	s_mov_b32 s31, s17
	v_pk_mul_f32 v[76:77], v[60:61], s[34:35] op_sel_hi:[0,1]
	v_pk_fma_f32 v[76:77], v[24:25], s[30:31], v[76:77] op_sel:[1,0,0]
	s_mov_b32 s34, s18
	s_mov_b32 s35, s16
	v_pk_add_f32 v[64:65], v[64:65], v[76:77]
	s_mov_b32 s30, s15
	s_mov_b32 s31, s3
	v_pk_mul_f32 v[76:77], v[28:29], s[34:35] op_sel_hi:[0,1]
	v_pk_fma_f32 v[76:77], v[30:31], s[30:31], v[76:77] op_sel:[1,0,0]
	v_pk_mul_f32 v[92:93], v[52:53], s[40:41] op_sel_hi:[0,1]
	v_pk_add_f32 v[64:65], v[64:65], v[76:77]
	v_mov_b32_e32 v85, v89
	v_mov_b32_e32 v81, v88
	v_pk_mul_f32 v[90:91], v[50:51], s[42:43] op_sel_hi:[0,1]
	ds_write2_b32 v8, v64, v65 offset0:13 offset1:14
	v_pk_add_f32 v[64:65], v[84:85], v[80:81]
	v_mov_b32_e32 v117, v87
	v_mov_b32_e32 v93, v86
	v_pk_mul_f32 v[94:95], v[54:55], s[44:45] op_sel_hi:[0,1]
	v_pk_add_f32 v[64:65], v[66:67], v[64:65]
	v_pk_add_f32 v[66:67], v[116:117], v[92:93]
	v_mov_b32_e32 v119, v83
	v_mov_b32_e32 v91, v82
	v_pk_mul_f32 v[98:99], v[56:57], s[46:47] op_sel_hi:[0,1]
	v_pk_add_f32 v[64:65], v[64:65], v[66:67]
	;; [unrolled: 5-line block ×5, first 2 shown]
	v_pk_add_f32 v[66:67], v[124:125], v[96:97]
	v_mov_b32_e32 v127, v71
	v_mov_b32_e32 v101, v70
	v_pk_add_f32 v[64:65], v[64:65], v[66:67]
	v_pk_add_f32 v[66:67], v[126:127], v[100:101]
	v_mov_b32_e32 v129, v69
	v_mov_b32_e32 v105, v68
	v_pk_add_f32 v[64:65], v[64:65], v[66:67]
	v_pk_add_f32 v[66:67], v[128:129], v[104:105]
	s_nop 0
	v_pk_add_f32 v[64:65], v[64:65], v[66:67]
	ds_write2_b32 v8, v64, v65 offset0:15 offset1:16
.LBB0_13:
	s_or_b64 exec, exec, s[28:29]
	v_mov_b32_e32 v16, v63
	v_mov_b32_e32 v48, v9
	s_mov_b32 s28, s7
	s_mov_b32 s29, s3
	v_pk_add_f32 v[108:109], v[16:17], v[48:49]
	s_mov_b32 s34, s2
	s_mov_b32 s35, s16
	v_pk_mul_f32 v[70:71], v[14:15], s[28:29] op_sel_hi:[0,1]
	s_mov_b32 s20, s21
	s_mov_b32 s21, s13
	v_pk_fma_f32 v[8:9], v[108:109], s[34:35], v[70:71] op_sel:[1,0,0]
	v_pk_fma_f32 v[16:17], v[108:109], s[34:35], v[70:71] op_sel:[1,0,0] neg_lo:[0,0,1] neg_hi:[0,0,1]
	s_mov_b32 s36, s12
	s_mov_b32 s37, s6
	v_pk_mul_f32 v[72:73], v[12:13], s[20:21] op_sel_hi:[0,1]
	v_mov_b32_e32 v9, v17
	v_pk_fma_f32 v[62:63], v[52:53], s[36:37], v[72:73] op_sel:[1,0,0]
	v_pk_fma_f32 v[64:65], v[52:53], s[36:37], v[72:73] op_sel:[1,0,0] neg_lo:[0,0,1] neg_hi:[0,0,1]
	s_mov_b32 s38, s16
	s_mov_b32 s16, s3
	v_pk_add_f32 v[8:9], v[6:7], v[8:9] op_sel:[1,0]
	v_mov_b32_e32 v63, v65
	s_mov_b32 s39, s10
	v_pk_mul_f32 v[74:75], v[10:11], s[16:17] op_sel_hi:[0,1]
	v_pk_add_f32 v[8:9], v[8:9], v[62:63]
	v_pk_fma_f32 v[62:63], v[50:51], s[38:39], v[74:75] op_sel:[1,0,0]
	v_pk_fma_f32 v[66:67], v[50:51], s[38:39], v[74:75] op_sel:[1,0,0] neg_lo:[0,0,1] neg_hi:[0,0,1]
	s_mov_b32 s16, s15
	s_mov_b32 s17, s19
	v_mov_b32_e32 v63, v67
	s_mov_b32 s20, s18
	s_mov_b32 s21, s22
	v_pk_mul_f32 v[76:77], v[18:19], s[16:17] op_sel_hi:[0,1]
	v_pk_add_f32 v[8:9], v[8:9], v[62:63]
	v_pk_fma_f32 v[62:63], v[54:55], s[20:21], v[76:77] op_sel:[1,0,0]
	v_pk_fma_f32 v[68:69], v[54:55], s[20:21], v[76:77] op_sel:[1,0,0] neg_lo:[0,0,1] neg_hi:[0,0,1]
	s_mov_b32 s28, s22
	s_mov_b32 s22, s25
	v_mov_b32_e32 v63, v69
	s_mov_b32 s29, s12
	v_pk_mul_f32 v[78:79], v[20:21], s[22:23] op_sel_hi:[0,1]
	v_pk_add_f32 v[8:9], v[8:9], v[62:63]
	v_pk_fma_f32 v[62:63], v[56:57], s[28:29], v[78:79] op_sel:[1,0,0]
	v_pk_fma_f32 v[86:87], v[56:57], s[28:29], v[78:79] op_sel:[1,0,0] neg_lo:[0,0,1] neg_hi:[0,0,1]
	s_mov_b32 s24, s6
	s_mov_b32 s6, s13
	v_mov_b32_e32 v63, v87
	s_mov_b32 s25, s2
	v_pk_mul_f32 v[80:81], v[34:35], s[6:7] op_sel_hi:[0,1]
	v_add_f32_e32 v4, v7, v16
	v_pk_add_f32 v[8:9], v[8:9], v[62:63]
	v_pk_fma_f32 v[62:63], v[58:59], s[24:25], v[80:81] op_sel:[1,0,0]
	v_pk_fma_f32 v[88:89], v[58:59], s[24:25], v[80:81] op_sel:[1,0,0] neg_lo:[0,0,1] neg_hi:[0,0,1]
	s_mov_b32 s2, s11
	s_mov_b32 s3, s15
	v_add_f32_e32 v4, v4, v64
	v_mov_b32_e32 v63, v89
	s_mov_b32 s30, s14
	s_mov_b32 s31, s18
	v_pk_mul_f32 v[82:83], v[24:25], s[2:3] op_sel_hi:[0,1]
	v_add_f32_e32 v4, v4, v66
	v_pk_add_f32 v[8:9], v[8:9], v[62:63]
	v_pk_fma_f32 v[62:63], v[60:61], s[30:31], v[82:83] op_sel:[1,0,0]
	v_pk_fma_f32 v[90:91], v[60:61], s[30:31], v[82:83] op_sel:[1,0,0] neg_lo:[0,0,1] neg_hi:[0,0,1]
	s_mov_b32 s22, s10
	s_mov_b32 s10, s27
	v_add_f32_e32 v4, v4, v68
	v_mov_b32_e32 v63, v91
	s_mov_b32 s23, s14
	v_pk_mul_f32 v[84:85], v[30:31], s[10:11] op_sel_hi:[0,1]
	v_add_f32_e32 v4, v4, v86
	v_pk_add_f32 v[8:9], v[8:9], v[62:63]
	v_pk_fma_f32 v[62:63], v[28:29], s[22:23], v[84:85] op_sel:[1,0,0]
	v_pk_fma_f32 v[92:93], v[28:29], s[22:23], v[84:85] op_sel:[1,0,0] neg_lo:[0,0,1] neg_hi:[0,0,1]
	v_add_f32_e32 v4, v4, v88
	v_lshl_add_u32 v70, v130, 2, 0
	v_mov_b32_e32 v63, v93
	v_add_f32_e32 v6, v4, v90
	v_add_u32_e32 v4, 0x500, v70
	v_add_u32_e32 v16, 0xb00, v70
	;; [unrolled: 1-line block ×3, first 2 shown]
	v_pk_add_f32 v[8:9], v[8:9], v[62:63]
	s_waitcnt lgkmcnt(0)
	s_barrier
	ds_read2_b32 v[62:63], v70 offset1:187
	ds_read2_b32 v[66:67], v4 offset0:54 offset1:241
	ds_read2_b32 v[64:65], v16 offset0:44 offset1:231
	;; [unrolled: 1-line block ×3, first 2 shown]
	v_add_f32_e32 v17, v6, v92
	s_waitcnt lgkmcnt(0)
	s_barrier
	s_and_saveexec_b64 s[2:3], s[0:1]
	s_cbranch_execz .LBB0_15
; %bb.14:
	s_mov_b32 s0, 0x3f3d2fb0
	v_mov_b32_e32 v110, v53
	v_mov_b32_e32 v111, v12
	s_mov_b32 s1, 0xbf2c7751
	v_pk_mul_f32 v[112:113], v[110:111], s[0:1]
	s_mov_b32 s17, 0xbf65296c
	v_mov_b32_e32 v115, v112
	v_pk_fma_f32 v[110:111], v[110:111], s[0:1], v[114:115]
	v_mov_b32_e32 v114, v51
	v_mov_b32_e32 v115, v10
	s_mov_b32 s16, 0x3ee437d1
	v_pk_mul_f32 v[116:117], v[114:115], s[16:17]
	s_mov_b32 s13, 0xbf7ee86f
	v_mov_b32_e32 v119, v116
	v_pk_fma_f32 v[114:115], v[114:115], s[16:17], v[118:119]
	v_mov_b32_e32 v118, v55
	v_mov_b32_e32 v119, v18
	s_mov_b32 s12, 0x3dbcf732
	v_pk_mul_f32 v[120:121], v[118:119], s[12:13]
	s_mov_b32 s19, 0x3f6eb680
	v_mov_b32_e32 v123, v120
	v_mov_b32_e32 v22, v45
	s_mov_b32 s14, 0xbe8c1d8e
	v_pk_fma_f32 v[118:119], v[118:119], s[12:13], v[122:123]
	v_mov_b32_e32 v122, v57
	v_mov_b32_e32 v123, v20
	s_mov_b32 s15, 0xbf763a35
	v_pk_add_f32 v[44:45], v[108:109], v[22:23]
	v_mov_b32_e32 v136, v47
	v_pk_mul_f32 v[46:47], v[108:109], s[18:19]
	v_pk_mul_f32 v[124:125], v[122:123], s[14:15]
	v_mul_f32_e32 v137, 0xbeb8f4ab, v14
	v_mov_b32_e32 v45, v47
	s_mov_b32 s6, 0xbf1a4643
	v_mov_b32_e32 v127, v124
	v_pk_add_f32 v[44:45], v[44:45], v[136:137]
	v_mov_b32_e32 v42, v43
	v_mov_b32_e32 v43, v7
	s_mov_b32 s7, 0xbf4c4adb
	v_pk_fma_f32 v[122:123], v[122:123], s[14:15], v[126:127]
	v_mov_b32_e32 v126, v59
	v_mov_b32_e32 v127, v34
	v_pk_add_f32 v[138:139], v[44:45], v[42:43]
	v_mov_b32_e32 v110, v39
	s_mov_b32 s10, 0xbf59a7d5
	s_mov_b32 s11, 0xbf06c442
	v_pk_mul_f32 v[128:129], v[126:127], s[6:7]
	v_mov_b32_e32 v132, v61
	v_mov_b32_e32 v133, v24
	v_pk_add_f32 v[110:111], v[110:111], v[138:139]
	v_mov_b32_e32 v114, v33
	v_mov_b32_e32 v131, v128
	v_pk_mul_f32 v[134:135], v[132:133], s[10:11]
	v_pk_add_f32 v[110:111], v[114:115], v[110:111]
	v_mov_b32_e32 v118, v41
	v_pk_fma_f32 v[126:127], v[126:127], s[6:7], v[130:131]
	v_mov_b32_e32 v131, v134
	v_pk_add_f32 v[40:41], v[118:119], v[110:111]
	v_mov_b32_e32 v122, v37
	v_pk_fma_f32 v[132:133], v[132:133], s[10:11], v[130:131]
	v_pk_add_f32 v[36:37], v[122:123], v[40:41]
	v_mov_b32_e32 v126, v27
	v_pk_add_f32 v[26:27], v[126:127], v[36:37]
	v_mov_b32_e32 v132, v23
	v_pk_add_f32 v[22:23], v[132:133], v[26:27]
	s_mov_b32 s26, 0xbf7ba420
	s_mov_b32 s27, 0xbe3c28d5
	v_mov_b32_e32 v26, v29
	v_mov_b32_e32 v27, v30
	v_pk_mul_f32 v[110:111], v[26:27], s[26:27]
	v_mov_b32_e32 v15, v14
	v_pk_mul_f32 v[38:39], v[58:59], s[24:25] op_sel:[1,0]
	v_mov_b32_e32 v37, v110
	s_mov_b32 s24, s1
	s_mov_b32 s25, s17
	v_mov_b32_e32 v104, v53
	v_mov_b32_e32 v105, v53
	v_mov_b32_e32 v13, v12
	v_pk_mul_f32 v[88:89], v[52:53], s[36:37] op_sel:[1,0]
	v_pk_fma_f32 v[26:27], v[26:27], s[26:27], v[36:37]
	v_pk_mul_f32 v[114:115], v[14:15], s[24:25]
	s_mov_b32 s36, s12
	s_mov_b32 s37, s6
	;; [unrolled: 1-line block ×4, first 2 shown]
	v_mov_b32_e32 v26, v49
	v_pk_mul_f32 v[36:37], v[12:13], s[24:25]
	v_pk_mul_f32 v[138:139], v[104:105], s[36:37]
	v_mov_b32_e32 v102, v51
	v_mov_b32_e32 v103, v51
	;; [unrolled: 1-line block ×3, first 2 shown]
	v_pk_mul_f32 v[86:87], v[50:51], s[38:39] op_sel:[1,0]
	v_pk_mul_f32 v[42:43], v[56:57], s[28:29] op_sel:[1,0]
	v_pk_add_f32 v[22:23], v[26:27], v[22:23]
	v_pk_fma_f32 v[26:27], v[104:105], s[36:37], v[36:37]
	s_mov_b32 s38, s6
	s_mov_b32 s39, s26
	;; [unrolled: 1-line block ×4, first 2 shown]
	v_mov_b32_e32 v139, v112
	v_mov_b32_e32 v37, v113
	;; [unrolled: 1-line block ×4, first 2 shown]
	v_pk_mul_f32 v[40:41], v[10:11], s[28:29]
	s_mov_b32 s44, s0
	s_mov_b32 s45, s16
	v_pk_add_f32 v[112:113], v[138:139], v[36:37] neg_lo:[0,1] neg_hi:[0,1]
	v_pk_mul_f32 v[36:37], v[102:103], s[38:39]
	v_mov_b32_e32 v98, v57
	v_mov_b32_e32 v99, v57
	;; [unrolled: 1-line block ×4, first 2 shown]
	v_pk_fma_f32 v[48:49], v[102:103], s[38:39], v[40:41]
	s_mov_b32 s42, s10
	s_mov_b32 s43, s0
	s_mov_b32 s25, 0x3f2c7751
	s_mov_b32 s24, 0x3f06c442
	v_pk_fma_f32 v[132:133], v[106:107], s[44:45], v[114:115]
	v_mov_b32_e32 v37, v116
	v_mov_b32_e32 v41, v117
	;; [unrolled: 1-line block ×5, first 2 shown]
	v_pk_mul_f32 v[90:91], v[108:109], s[34:35] op_sel:[1,0]
	s_mov_b32 s35, 0x3f763a35
	s_mov_b32 s40, s26
	;; [unrolled: 1-line block ×4, first 2 shown]
	v_pk_mul_f32 v[126:127], v[20:21], s[24:25]
	v_pk_add_f32 v[132:133], v[6:7], v[132:133]
	v_pk_add_f32 v[116:117], v[36:37], v[40:41] neg_lo:[0,1] neg_hi:[0,1]
	v_mul_f32_e32 v36, 0x3f6eb680, v51
	v_pk_mul_f32 v[50:51], v[98:99], s[42:43]
	v_pk_mul_f32 v[118:119], v[18:19], s[34:35]
	v_pk_add_f32 v[26:27], v[132:133], v[26:27]
	v_pk_fma_f32 v[132:133], v[98:99], s[42:43], v[126:127]
	v_pk_mul_f32 v[40:41], v[100:101], s[40:41]
	v_mov_b32_e32 v51, v124
	v_mov_b32_e32 v127, v125
	;; [unrolled: 1-line block ×3, first 2 shown]
	v_pk_mul_f32 v[44:45], v[54:55], s[20:21] op_sel:[1,0]
	s_mov_b32 s21, 0xbeb8f4ab
	v_pk_fma_f32 v[122:123], v[100:101], s[40:41], v[118:119]
	s_mov_b32 s20, s35
	v_pk_add_f32 v[26:27], v[26:27], v[48:49]
	v_mov_b32_e32 v41, v120
	v_mov_b32_e32 v119, v121
	v_pk_add_f32 v[120:121], v[50:51], v[126:127] neg_lo:[0,1] neg_hi:[0,1]
	v_pk_mul_f32 v[126:127], v[106:107], s[44:45]
	v_mov_b32_e32 v96, v59
	v_mov_b32_e32 v97, v59
	s_mov_b32 s18, s14
	v_pk_mul_f32 v[48:49], v[34:35], s[20:21]
	v_pk_add_f32 v[26:27], v[26:27], v[122:123]
	v_mov_b32_e32 v127, v47
	v_mov_b32_e32 v115, v137
	;; [unrolled: 1-line block ×3, first 2 shown]
	v_pk_mul_f32 v[32:33], v[60:61], s[30:31] op_sel:[1,0]
	v_pk_fma_f32 v[122:123], v[96:97], s[18:19], v[48:49]
	v_pk_add_f32 v[26:27], v[26:27], v[132:133]
	s_mov_b32 s30, 0x3f65296c
	s_mov_b32 s31, s13
	v_pk_add_f32 v[114:115], v[126:127], v[114:115] neg_lo:[0,1] neg_hi:[0,1]
	v_mov_b32_e32 v94, v61
	v_mov_b32_e32 v95, v61
	v_pk_add_f32 v[26:27], v[26:27], v[122:123]
	s_mov_b32 s46, s16
	s_mov_b32 s47, s12
	v_pk_mul_f32 v[122:123], v[24:25], s[30:31]
	v_pk_add_f32 v[114:115], v[6:7], v[114:115]
	v_pk_fma_f32 v[132:133], v[94:95], s[46:47], v[122:123]
	v_pk_add_f32 v[112:113], v[114:115], v[112:113]
	v_mov_b32_e32 v92, v29
	v_mov_b32_e32 v93, v29
	;; [unrolled: 1-line block ×3, first 2 shown]
	v_pk_add_f32 v[132:133], v[26:27], v[132:133]
	v_pk_mul_f32 v[26:27], v[28:29], s[22:23] op_sel:[1,0]
	v_mul_f32_e32 v28, 0xbe8c1d8e, v53
	v_pk_add_f32 v[118:119], v[40:41], v[118:119] neg_lo:[0,1] neg_hi:[0,1]
	v_pk_mul_f32 v[52:53], v[96:97], s[18:19]
	s_mov_b32 s38, s19
	s_mov_b32 s39, s10
	;; [unrolled: 1-line block ×4, first 2 shown]
	v_pk_add_f32 v[112:113], v[112:113], v[116:117]
	v_mov_b32_e32 v53, v128
	v_mov_b32_e32 v49, v129
	v_pk_mul_f32 v[126:127], v[94:95], s[46:47]
	v_pk_mul_f32 v[114:115], v[92:93], s[38:39]
	;; [unrolled: 1-line block ×3, first 2 shown]
	v_pk_add_f32 v[112:113], v[112:113], v[118:119]
	v_pk_add_f32 v[124:125], v[52:53], v[48:49] neg_lo:[0,1] neg_hi:[0,1]
	v_pk_fma_f32 v[118:119], v[92:93], s[38:39], v[116:117]
	v_pk_add_f32 v[112:113], v[112:113], v[120:121]
	v_mov_b32_e32 v127, v134
	v_mov_b32_e32 v123, v135
	;; [unrolled: 1-line block ×4, first 2 shown]
	s_mov_b32 s38, s13
	s_mov_b32 s39, s15
	v_pk_add_f32 v[112:113], v[112:113], v[124:125]
	v_pk_add_f32 v[120:121], v[126:127], v[122:123] neg_lo:[0,1] neg_hi:[0,1]
	v_pk_add_f32 v[110:111], v[114:115], v[116:117] neg_lo:[0,1] neg_hi:[0,1]
	v_pk_mul_f32 v[114:115], v[14:15], s[38:39]
	s_mov_b32 s40, s27
	s_mov_b32 s41, s24
	;; [unrolled: 1-line block ×3, first 2 shown]
	v_pk_add_f32 v[112:113], v[112:113], v[120:121]
	s_mov_b32 s38, s26
	s_mov_b32 s39, s10
	v_pk_mul_f32 v[116:117], v[12:13], s[40:41]
	s_mov_b32 s34, s35
	s_mov_b32 s35, s25
	v_pk_fma_f32 v[134:135], v[106:107], s[12:13], v[114:115]
	v_pk_add_f32 v[110:111], v[112:113], v[110:111]
	v_pk_add_f32 v[112:113], v[132:133], v[118:119]
	v_pk_fma_f32 v[118:119], v[104:105], s[38:39], v[116:117]
	s_mov_b32 s40, s14
	s_mov_b32 s41, s0
	v_pk_mul_f32 v[120:121], v[10:11], s[34:35]
	s_mov_b32 s37, s17
	v_pk_add_f32 v[134:135], v[6:7], v[134:135]
	v_pk_fma_f32 v[122:123], v[102:103], s[40:41], v[120:121]
	s_mov_b32 s34, s19
	s_mov_b32 s35, s16
	v_pk_mul_f32 v[124:125], v[18:19], s[36:37]
	s_mov_b32 s44, s17
	s_mov_b32 s45, s27
	v_pk_add_f32 v[118:119], v[134:135], v[118:119]
	s_mov_b32 s23, 0x3f7ee86f
	v_pk_fma_f32 v[126:127], v[100:101], s[34:35], v[124:125]
	s_mov_b32 s42, s16
	s_mov_b32 s43, s26
	v_pk_mul_f32 v[132:133], v[20:21], s[44:45]
	s_mov_b32 s22, s11
	v_pk_add_f32 v[118:119], v[118:119], v[122:123]
	v_pk_fma_f32 v[134:135], v[98:99], s[42:43], v[132:133]
	s_mov_b32 s44, s10
	s_mov_b32 s45, s12
	v_pk_mul_f32 v[122:123], v[34:35], s[22:23]
	v_pk_add_f32 v[118:119], v[118:119], v[126:127]
	v_pk_fma_f32 v[126:127], v[96:97], s[44:45], v[122:123]
	v_pk_add_f32 v[118:119], v[118:119], v[134:135]
	s_mov_b32 s20, 0x3f4c4adb
	v_pk_add_f32 v[118:119], v[118:119], v[126:127]
	s_mov_b32 s18, s6
	v_pk_mul_f32 v[126:127], v[24:25], s[20:21]
	s_mov_b32 s46, s23
	v_pk_fma_f32 v[134:135], v[94:95], s[18:19], v[126:127]
	s_mov_b32 s47, s30
	v_mul_f32_e32 v46, 0xbf4c4adb, v14
	v_pk_add_f32 v[118:119], v[118:119], v[134:135]
	v_pk_mul_f32 v[134:135], v[106:107], s[12:13]
	s_mov_b32 s13, s16
	v_pk_mul_f32 v[14:15], v[14:15], s[46:47]
	s_mov_b32 s28, s29
	s_mov_b32 s29, s20
	v_mul_f32_e32 v54, 0x3f763a35, v12
	v_pk_fma_f32 v[14:15], v[106:107], s[12:13], v[14:15]
	s_mov_b32 s46, s26
	s_mov_b32 s47, s6
	v_pk_mul_f32 v[12:13], v[12:13], s[28:29]
	s_mov_b32 s29, s26
	s_mov_b32 s26, s15
	v_mul_f32_e32 v56, 0xbeb8f4ab, v10
	v_pk_fma_f32 v[12:13], v[104:105], s[46:47], v[12:13]
	s_mov_b32 s28, s14
	v_pk_mul_f32 v[10:11], v[10:11], s[26:27]
	s_mov_b32 s27, s14
	s_mov_b32 s14, s21
	v_pk_add_f32 v[14:15], v[6:7], v[14:15]
	v_mul_f32_e32 v60, 0xbf06c442, v18
	v_pk_fma_f32 v[10:11], v[102:103], s[28:29], v[10:11]
	s_mov_b32 s26, s19
	v_pk_mul_f32 v[18:19], v[18:19], s[14:15]
	s_mov_b32 s31, s1
	v_pk_add_f32 v[12:13], v[14:15], v[12:13]
	v_mul_f32_e32 v108, 0x3f7ee86f, v20
	v_pk_fma_f32 v[18:19], v[100:101], s[26:27], v[18:19]
	s_mov_b32 s17, s0
	v_pk_mul_f32 v[20:21], v[20:21], s[30:31]
	s_mov_b32 s14, s25
	s_mov_b32 s25, s36
	v_pk_add_f32 v[10:11], v[12:13], v[10:11]
	v_mul_f32_e32 v58, 0xbf2c7751, v34
	v_pk_fma_f32 v[20:21], v[98:99], s[16:17], v[20:21]
	s_mov_b32 s11, s19
	v_pk_mul_f32 v[34:35], v[34:35], s[24:25]
	s_mov_b32 s15, s7
	v_pk_add_f32 v[10:11], v[10:11], v[18:19]
	s_mov_b32 s22, s7
	v_mul_f32_e32 v126, 0xbe3c28d5, v24
	v_pk_fma_f32 v[34:35], v[96:97], s[10:11], v[34:35]
	v_pk_mul_f32 v[18:19], v[30:31], s[14:15]
	v_pk_add_f32 v[10:11], v[10:11], v[20:21]
	s_mov_b32 s14, s6
	s_mov_b32 s15, s12
	v_pk_mul_f32 v[24:25], v[24:25], s[22:23]
	s_mov_b32 s16, s0
	s_mov_b32 s17, s6
	v_pk_add_f32 v[10:11], v[10:11], v[34:35]
	v_pk_fma_f32 v[24:25], v[94:95], s[14:15], v[24:25]
	s_mov_b32 s6, s0
	s_mov_b32 s0, s1
	;; [unrolled: 1-line block ×3, first 2 shown]
	v_mul_f32_e32 v128, 0xbf1a4643, v109
	v_pk_mul_f32 v[104:105], v[104:105], s[38:39]
	v_pk_mul_f32 v[96:97], v[96:97], s[44:45]
	;; [unrolled: 1-line block ×3, first 2 shown]
	v_pk_add_f32 v[10:11], v[10:11], v[24:25]
	s_mov_b32 s7, s10
	v_pk_mul_f32 v[24:25], v[30:31], s[0:1]
	v_mov_b32_e32 v129, v135
	v_mov_b32_e32 v47, v115
	v_mul_f32_e32 v40, 0xbf59a7d5, v55
	v_pk_mul_f32 v[102:103], v[102:103], s[40:41]
	v_pk_fma_f32 v[24:25], v[92:93], s[6:7], v[24:25]
	v_mul_f32_e32 v12, 0x3ee437d1, v29
	v_mov_b32_e32 v29, v105
	v_mov_b32_e32 v55, v117
	;; [unrolled: 1-line block ×3, first 2 shown]
	v_pk_add_f32 v[96:97], v[128:129], v[46:47] neg_lo:[0,1] neg_hi:[0,1]
	v_mul_f32_e32 v50, 0x3dbcf732, v57
	v_pk_mul_f32 v[100:101], v[100:101], s[34:35]
	v_pk_add_f32 v[10:11], v[10:11], v[24:25]
	v_pk_add_f32 v[24:25], v[28:29], v[54:55] neg_lo:[0,1] neg_hi:[0,1]
	v_mov_b32_e32 v37, v103
	v_mov_b32_e32 v57, v121
	v_pk_add_f32 v[96:97], v[6:7], v[96:97]
	v_mul_f32_e32 v48, 0xbf7ba420, v61
	v_pk_mul_f32 v[98:99], v[98:99], s[42:43]
	v_pk_fma_f32 v[20:21], v[92:93], s[16:17], v[18:19]
	v_mul_f32_e32 v18, 0x3f65296c, v30
	v_pk_add_f32 v[30:31], v[36:37], v[56:57] neg_lo:[0,1] neg_hi:[0,1]
	v_mov_b32_e32 v41, v101
	v_mov_b32_e32 v61, v125
	v_pk_add_f32 v[24:25], v[96:97], v[24:25]
	v_pk_add_f32 v[34:35], v[40:41], v[60:61] neg_lo:[0,1] neg_hi:[0,1]
	v_mov_b32_e32 v51, v99
	v_mov_b32_e32 v109, v133
	v_pk_add_f32 v[24:25], v[24:25], v[30:31]
	v_mul_f32_e32 v52, 0x3f3d2fb0, v59
	v_pk_mul_f32 v[14:15], v[94:95], s[18:19]
	v_pk_add_f32 v[92:93], v[50:51], v[108:109] neg_lo:[0,1] neg_hi:[0,1]
	v_mov_b32_e32 v59, v123
	v_pk_add_f32 v[24:25], v[24:25], v[34:35]
	v_pk_add_f32 v[94:95], v[52:53], v[58:59] neg_lo:[0,1] neg_hi:[0,1]
	v_pk_add_f32 v[24:25], v[24:25], v[92:93]
	v_mov_b32_e32 v49, v15
	v_pk_add_f32 v[24:25], v[24:25], v[94:95]
	v_pk_add_f32 v[14:15], v[48:49], v[126:127] neg_lo:[0,1] neg_hi:[0,1]
	v_mov_b32_e32 v129, v91
	v_pk_add_f32 v[14:15], v[24:25], v[14:15]
	v_pk_add_f32 v[24:25], v[12:13], v[18:19] neg_lo:[0,1] neg_hi:[0,1]
	v_mov_b32_e32 v47, v71
	v_pk_add_f32 v[14:15], v[14:15], v[24:25]
	v_pk_add_f32 v[24:25], v[128:129], v[46:47]
	v_mov_b32_e32 v29, v89
	v_mov_b32_e32 v55, v73
	v_pk_add_f32 v[6:7], v[6:7], v[24:25]
	v_pk_add_f32 v[24:25], v[28:29], v[54:55]
	v_mov_b32_e32 v37, v87
	;; [unrolled: 4-line block ×7, first 2 shown]
	v_mov_b32_e32 v19, v85
	v_pk_add_f32 v[6:7], v[6:7], v[24:25]
	v_pk_add_f32 v[12:13], v[12:13], v[18:19]
	;; [unrolled: 1-line block ×4, first 2 shown]
	v_lshl_add_u32 v12, v130, 6, v70
	ds_write2_b32 v12, v22, v23 offset1:1
	ds_write2_b32 v12, v112, v113 offset0:2 offset1:3
	ds_write2_b32 v12, v20, v21 offset0:4 offset1:5
	ds_write2_b32 v12, v6, v7 offset0:6 offset1:7
	ds_write2_b32 v12, v8, v17 offset0:8 offset1:9
	ds_write_b32 v12, v9 offset:40
	ds_write2_b32 v12, v14, v15 offset0:11 offset1:12
	ds_write2_b32 v12, v10, v11 offset0:13 offset1:14
	;; [unrolled: 1-line block ×3, first 2 shown]
.LBB0_15:
	s_or_b64 exec, exec, s[2:3]
	s_movk_i32 s0, 0xf1
	v_mul_lo_u16_sdwa v6, v130, s0 dst_sel:DWORD dst_unused:UNUSED_PAD src0_sel:BYTE_0 src1_sel:DWORD
	v_lshrrev_b16_e32 v32, 12, v6
	v_mul_lo_u16_e32 v6, 17, v32
	v_sub_u16_e32 v33, v130, v6
	v_mov_b32_e32 v6, 7
	v_mul_u32_u24_sdwa v6, v33, v6 dst_sel:DWORD dst_unused:UNUSED_PAD src0_sel:BYTE_0 src1_sel:DWORD
	v_lshlrev_b32_e32 v14, 3, v6
	s_waitcnt lgkmcnt(0)
	s_barrier
	global_load_dwordx4 v[10:13], v14, s[4:5] offset:16
	global_load_dwordx4 v[18:21], v14, s[4:5] offset:32
	global_load_dwordx4 v[22:25], v14, s[4:5]
	global_load_dwordx2 v[6:7], v14, s[4:5] offset:48
	ds_read2_b32 v[14:15], v70 offset1:187
	ds_read2_b32 v[26:27], v4 offset0:54 offset1:241
	ds_read2_b32 v[28:29], v16 offset0:44 offset1:231
	;; [unrolled: 1-line block ×3, first 2 shown]
	v_mov_b32_e32 v4, 2
	v_mul_u32_u24_e32 v42, 0x220, v32
	v_lshlrev_b32_sdwa v4, v4, v33 dst_sel:DWORD dst_unused:UNUSED_PAD src0_sel:DWORD src1_sel:BYTE_0
	s_mov_b32 s6, 0x3f3504f3
	s_mov_b32 s7, 2.0
	s_movk_i32 s0, 0x88
	s_movk_i32 s2, 0x87
	v_cmp_gt_u32_e64 s[0:1], s0, v130
	v_cmp_lt_u32_e64 s[2:3], s2, v130
	s_waitcnt lgkmcnt(0)
	s_barrier
	s_waitcnt vmcnt(3)
	v_mov_b32_e32 v32, v13
	v_mul_f32_e32 v36, v67, v11
	s_waitcnt vmcnt(1)
	v_mul_f32_e32 v16, v15, v23
	v_mul_f32_e32 v23, v63, v23
	;; [unrolled: 1-line block ×7, first 2 shown]
	s_waitcnt vmcnt(0)
	v_mul_f32_e32 v21, v31, v7
	v_mul_f32_e32 v40, v69, v7
	;; [unrolled: 1-line block ×3, first 2 shown]
	v_mov_b32_e32 v13, v19
	v_mov_b32_e32 v33, v18
	v_mul_f32_e32 v39, v65, v19
	v_fma_f32 v16, v63, v22, -v16
	v_fmac_f32_e32 v23, v15, v22
	v_fma_f32 v15, v66, v24, -v35
	v_fma_f32 v22, v67, v10, -v25
	v_fmac_f32_e32 v36, v27, v10
	v_fma_f32 v10, v68, v20, -v11
	v_fmac_f32_e32 v38, v30, v20
	v_fma_f32 v19, v69, v6, -v21
	v_fmac_f32_e32 v40, v31, v6
	v_fma_f32 v20, v64, v12, -v7
	v_pk_mul_f32 v[6:7], v[28:29], v[12:13]
	v_fmac_f32_e32 v39, v29, v18
	v_sub_f32_e32 v10, v15, v10
	v_sub_f32_e32 v21, v22, v19
	v_pk_fma_f32 v[12:13], v[64:65], v[32:33], v[6:7]
	v_pk_fma_f32 v[18:19], v[64:65], v[32:33], v[6:7] neg_lo:[0,0,1] neg_hi:[0,0,1]
	v_fmac_f32_e32 v34, v26, v24
	v_add_f32_e32 v35, v15, v15
	v_mov_b32_e32 v15, v16
	v_sub_f32_e32 v26, v23, v39
	v_mov_b32_e32 v13, v19
	v_mov_b32_e32 v39, v10
	v_sub_f32_e32 v18, v62, v20
	v_pk_add_f32 v[24:25], v[14:15], v[12:13] neg_lo:[0,1] neg_hi:[0,1]
	v_pk_add_f32 v[12:13], v[34:35], v[38:39] neg_lo:[0,1] neg_hi:[0,1]
	v_add_f32_e32 v37, v34, v34
	v_add_f32_e32 v11, v16, v16
	;; [unrolled: 1-line block ×3, first 2 shown]
	v_fma_f32 v19, v62, 2.0, -v18
	v_mov_b32_e32 v41, v12
	v_fma_f32 v7, v22, 2.0, -v21
	v_mul_f32_e32 v6, 0x3f3504f3, v20
	v_fma_f32 v22, v26, 2.0, -v20
	v_fma_f32 v15, v14, 2.0, -v24
	v_pk_add_f32 v[20:21], v[10:11], v[24:25]
	v_pk_add_f32 v[10:11], v[10:11], v[24:25] neg_lo:[0,1] neg_hi:[0,1]
	v_mov_b32_e32 v14, v25
	v_pk_add_f32 v[34:35], v[18:19], v[12:13] neg_lo:[0,1] neg_hi:[0,1]
	v_pk_add_f32 v[12:13], v[36:37], v[40:41] neg_lo:[0,1] neg_hi:[0,1]
	v_fma_f32 v16, v23, 2.0, -v26
	v_mov_b32_e32 v21, v11
	v_pk_add_f32 v[26:27], v[14:15], v[12:13] neg_lo:[0,1] neg_hi:[0,1]
	v_pk_fma_f32 v[38:39], v[18:19], 2.0, v[34:35] op_sel_hi:[1,0,1] neg_lo:[0,0,1] neg_hi:[0,0,1]
	v_pk_add_f32 v[32:33], v[20:21], v[6:7] neg_lo:[0,1] neg_hi:[0,1]
	v_fma_f32 v10, v36, 2.0, -v12
	v_pk_fma_f32 v[30:31], v[14:15], 2.0, v[26:27] op_sel_hi:[1,0,1] neg_lo:[0,0,1] neg_hi:[0,0,1]
	v_fma_f32 v23, v11, 2.0, -v33
	v_sub_f32_e32 v29, v16, v10
	v_pk_fma_f32 v[10:11], v[30:31], s[6:7], v[38:39] neg_lo:[1,0,0] neg_hi:[1,0,0]
	v_mul_f32_e32 v22, 0x3f3504f3, v22
	v_mov_b32_e32 v28, v6
	v_mov_b32_e32 v19, v35
	v_fmamk_f32 v18, v26, 0x3f3504f3, v34
	v_mov_b32_e32 v11, v39
	v_pk_add_f32 v[12:13], v[18:19], v[28:29] neg_lo:[0,1] neg_hi:[0,1]
	v_pk_add_f32 v[14:15], v[10:11], v[22:23] neg_lo:[0,1] neg_hi:[0,1]
	v_pk_fma_f32 v[18:19], v[34:35], 2.0, v[12:13] op_sel_hi:[1,0,1] neg_lo:[0,0,1] neg_hi:[0,0,1]
	v_pk_fma_f32 v[10:11], v[38:39], 2.0, v[14:15] op_sel_hi:[1,0,1] neg_lo:[0,0,1] neg_hi:[0,0,1]
	v_add3_u32 v25, 0, v42, v4
	ds_write2_b32 v25, v11, v10 offset1:17
	ds_write2_b32 v25, v19, v18 offset0:34 offset1:51
	ds_write2_b32 v25, v15, v14 offset0:68 offset1:85
	;; [unrolled: 1-line block ×3, first 2 shown]
	s_waitcnt lgkmcnt(0)
	s_barrier
	s_and_saveexec_b64 s[10:11], s[2:3]
	s_xor_b64 s[10:11], exec, s[10:11]
	s_or_saveexec_b64 s[10:11], s[10:11]
	v_pk_mul_f32 v[34:35], v[30:31], s[6:7]
	v_mul_f32_e32 v26, 0x3f3504f3, v26
	s_xor_b64 exec, exec, s[10:11]
	s_cbranch_execz .LBB0_17
; %bb.16:
	v_add_u32_e32 v2, 0x400, v70
	ds_read2_b32 v[14:15], v2 offset0:16 offset1:152
	v_add_u32_e32 v2, 0x800, v70
	v_add_u32_e32 v3, 0x1000, v70
	ds_read2_b32 v[12:13], v70 offset1:136
	ds_read2_b32 v[4:5], v3 offset0:64 offset1:200
	ds_read2_b32 v[36:37], v2 offset0:32 offset1:168
	v_add_u32_e32 v2, 0xc00, v70
	ds_read2_b32 v[38:39], v2 offset0:48 offset1:184
	ds_read_b32 v3, v70 offset:5440
	s_waitcnt lgkmcnt(5)
	v_mov_b32_e32 v18, v15
	s_waitcnt lgkmcnt(3)
	v_mov_b32_e32 v2, v4
	v_mov_b32_e32 v10, v13
	;; [unrolled: 1-line block ×4, first 2 shown]
	s_waitcnt lgkmcnt(2)
	v_mov_b32_e32 v15, v36
	v_mov_b32_e32 v14, v37
	s_waitcnt lgkmcnt(1)
	v_mov_b32_e32 v13, v38
	v_mov_b32_e32 v12, v39
.LBB0_17:
	s_or_b64 exec, exec, s[10:11]
	v_fma_f32 v30, v24, 2.0, -v20
	v_pk_add_f32 v[36:37], v[20:21], v[6:7]
	v_fma_f32 v23, v16, 2.0, -v29
	v_mov_b32_e32 v37, v33
	v_pk_add_f32 v[38:39], v[30:31], v[22:23] neg_lo:[0,1] neg_hi:[0,1]
	v_pk_add_f32 v[32:33], v[26:27], v[36:37]
	v_pk_add_f32 v[6:7], v[34:35], v[38:39]
	v_pk_add_f32 v[22:23], v[34:35], v[38:39] neg_lo:[0,1] neg_hi:[0,1]
	v_fma_f32 v43, v30, 2.0, -v6
	v_fma_f32 v34, v27, 2.0, -v33
	;; [unrolled: 1-line block ×3, first 2 shown]
	s_waitcnt lgkmcnt(0)
	s_barrier
	ds_write2_b32 v25, v23, v43 offset1:17
	ds_write2_b32 v25, v34, v35 offset0:34 offset1:51
	ds_write2_b32 v25, v39, v6 offset0:68 offset1:85
	;; [unrolled: 1-line block ×3, first 2 shown]
	s_waitcnt lgkmcnt(0)
	s_barrier
	s_and_saveexec_b64 s[6:7], s[2:3]
	s_xor_b64 s[2:3], exec, s[6:7]
	s_cbranch_execnz .LBB0_21
; %bb.18:
	s_andn2_saveexec_b64 s[2:3], s[2:3]
	s_cbranch_execnz .LBB0_22
.LBB0_19:
	s_or_b64 exec, exec, s[2:3]
	s_and_b64 s[0:1], vcc, s[0:1]
	s_and_saveexec_b64 s[2:3], s[0:1]
	s_cbranch_execnz .LBB0_23
.LBB0_20:
	s_endpgm
.LBB0_21:
	v_mov_b32_e32 v7, v23
                                        ; implicit-def: $vgpr70
	s_andn2_saveexec_b64 s[2:3], s[2:3]
	s_cbranch_execz .LBB0_19
.LBB0_22:
	v_add_u32_e32 v4, 0x400, v70
	ds_read2_b32 v[34:35], v4 offset0:16 offset1:152
	v_add_u32_e32 v4, 0xc00, v70
	v_add_u32_e32 v6, 0x1000, v70
	ds_read2_b32 v[42:43], v70 offset1:136
	ds_read2_b32 v[16:17], v6 offset0:64 offset1:200
	ds_read2_b32 v[6:7], v4 offset0:48 offset1:184
	v_add_u32_e32 v4, 0x800, v70
	ds_read2_b32 v[20:21], v4 offset0:32 offset1:168
	ds_read_b32 v9, v70 offset:5440
	s_waitcnt lgkmcnt(3)
	v_mov_b32_e32 v8, v16
	s_waitcnt lgkmcnt(2)
	v_mov_b32_e32 v32, v7
	v_mov_b32_e32 v33, v6
	s_waitcnt lgkmcnt(1)
	v_mov_b32_e32 v6, v21
	v_mov_b32_e32 v7, v42
	;; [unrolled: 1-line block ×3, first 2 shown]
	s_or_b64 exec, exec, s[2:3]
	s_and_b64 s[0:1], vcc, s[0:1]
	s_and_saveexec_b64 s[2:3], s[0:1]
	s_cbranch_execz .LBB0_20
.LBB0_23:
	v_mul_u32_u24_e32 v4, 10, v130
	v_lshlrev_b32_e32 v16, 3, v4
	global_load_dwordx4 v[48:51], v16, s[4:5] offset:968
	global_load_dwordx4 v[52:55], v16, s[4:5] offset:952
	;; [unrolled: 1-line block ×5, first 2 shown]
	v_mad_u64_u32 v[20:21], s[0:1], s8, v130, 0
	v_mov_b32_e32 v4, v21
	v_mad_u64_u32 v[22:23], s[0:1], s9, v130, v[4:5]
	v_mov_b32_e32 v21, v22
	v_add_u32_e32 v22, 0x88, v130
	v_lshl_add_u64 v[40:41], v[20:21], 3, v[0:1]
	v_mad_u64_u32 v[20:21], s[0:1], s8, v22, 0
	v_mov_b32_e32 v4, v21
	v_mad_u64_u32 v[22:23], s[0:1], s9, v22, v[4:5]
	v_mov_b32_e32 v21, v22
	v_add_u32_e32 v22, 0x110, v130
	v_lshl_add_u64 v[68:69], v[20:21], 3, v[0:1]
	;; [unrolled: 6-line block ×5, first 2 shown]
	v_mad_u64_u32 v[20:21], s[0:1], s8, v22, 0
	v_mov_b32_e32 v4, v21
	v_mad_u64_u32 v[22:23], s[0:1], s9, v22, v[4:5]
	v_add_u32_e32 v24, 0x330, v130
	v_mov_b32_e32 v21, v22
	v_mad_u64_u32 v[22:23], s[0:1], s8, v24, 0
	v_mov_b32_e32 v4, v23
	v_mad_u64_u32 v[24:25], s[0:1], s9, v24, v[4:5]
	v_add_u32_e32 v26, 0x3b8, v130
	v_mov_b32_e32 v23, v24
	;; [unrolled: 5-line block ×5, first 2 shown]
	v_mad_u64_u32 v[44:45], s[0:1], s8, v16, 0
	v_mov_b32_e32 v4, v45
	v_mad_u64_u32 v[70:71], s[0:1], s9, v16, v[4:5]
	v_mov_b32_e32 v4, v43
	s_waitcnt vmcnt(3)
	v_pk_mul_f32 v[42:43], v[4:5], v[52:53] op_sel_hi:[0,1]
	v_mov_b32_e32 v45, v70
	v_pk_fma_f32 v[70:71], v[10:11], v[52:53], v[42:43] op_sel:[0,0,1] op_sel_hi:[1,1,0] neg_lo:[0,0,1] neg_hi:[0,0,1]
	v_pk_fma_f32 v[42:43], v[10:11], v[52:53], v[42:43] op_sel:[0,0,1] op_sel_hi:[0,1,0]
	v_mov_b32_e32 v71, v43
	s_waitcnt vmcnt(2) lgkmcnt(0)
	v_pk_mul_f32 v[42:43], v[8:9], v[58:59] op_sel:[1,0]
	v_mov_b32_e32 v16, v17
	v_pk_fma_f32 v[52:53], v[2:3], v[58:59], v[42:43] op_sel:[1,0,1] op_sel_hi:[1,1,0] neg_lo:[0,0,1] neg_hi:[0,0,1]
	v_pk_fma_f32 v[42:43], v[2:3], v[58:59], v[42:43] op_sel:[1,0,1] op_sel_hi:[1,1,0]
	v_pk_mul_f32 v[58:59], v[34:35], v[54:55] op_sel_hi:[0,1]
	v_pk_fma_f32 v[72:73], v[18:19], v[54:55], v[58:59] op_sel:[1,0,1] op_sel_hi:[1,1,0] neg_lo:[0,0,1] neg_hi:[0,0,1]
	v_pk_fma_f32 v[54:55], v[18:19], v[54:55], v[58:59] op_sel:[1,0,1] op_sel_hi:[1,1,0]
	v_mov_b32_e32 v4, v5
	v_mov_b32_e32 v10, v5
	v_pk_mul_f32 v[16:17], v[16:17], v[56:57] op_sel_hi:[0,1]
	v_mov_b32_e32 v73, v55
	v_pk_fma_f32 v[54:55], v[4:5], v[56:57], v[16:17] op_sel:[0,0,1] op_sel_hi:[1,1,0] neg_lo:[0,0,1] neg_hi:[0,0,1]
	v_pk_fma_f32 v[4:5], v[10:11], v[56:57], v[16:17] op_sel:[0,0,1] op_sel_hi:[0,1,0]
	v_mov_b32_e32 v10, v35
	v_pk_mul_f32 v[34:35], v[10:11], v[48:49] op_sel_hi:[0,1]
	v_pk_fma_f32 v[56:57], v[18:19], v[48:49], v[34:35] op_sel:[0,0,1] op_sel_hi:[1,1,0] neg_lo:[0,0,1] neg_hi:[0,0,1]
	v_pk_fma_f32 v[18:19], v[18:19], v[48:49], v[34:35] op_sel:[0,0,1] op_sel_hi:[0,1,0]
	v_mov_b32_e32 v34, v39
	v_mov_b32_e32 v10, v15
	;; [unrolled: 1-line block ×3, first 2 shown]
	v_pk_mul_f32 v[34:35], v[34:35], v[50:51] op_sel_hi:[0,1]
	v_mov_b32_e32 v57, v19
	v_pk_fma_f32 v[38:39], v[10:11], v[50:51], v[34:35] op_sel:[0,0,1] op_sel_hi:[1,1,0] neg_lo:[0,0,1] neg_hi:[0,0,1]
	v_pk_fma_f32 v[18:19], v[18:19], v[50:51], v[34:35] op_sel:[0,0,1] op_sel_hi:[0,1,0]
	v_mov_b32_e32 v39, v19
	s_waitcnt vmcnt(1)
	v_pk_mul_f32 v[18:19], v[32:33], v[60:61] op_sel_hi:[0,1]
	s_waitcnt vmcnt(0)
	v_pk_mul_f32 v[58:59], v[6:7], v[64:65] op_sel_hi:[0,1]
	v_pk_fma_f32 v[50:51], v[12:13], v[60:61], v[18:19] op_sel:[0,0,1] op_sel_hi:[1,1,0] neg_lo:[0,0,1] neg_hi:[0,0,1]
	v_pk_fma_f32 v[18:19], v[12:13], v[60:61], v[18:19] op_sel:[0,0,1] op_sel_hi:[0,1,0]
	v_pk_fma_f32 v[60:61], v[14:15], v[64:65], v[58:59] op_sel:[0,0,1] op_sel_hi:[1,1,0] neg_lo:[0,0,1] neg_hi:[0,0,1]
	v_pk_fma_f32 v[14:15], v[14:15], v[64:65], v[58:59] op_sel:[0,0,1] op_sel_hi:[0,1,0]
	v_mov_b32_e32 v6, v13
	v_mov_b32_e32 v10, v13
	v_pk_mul_f32 v[12:13], v[32:33], v[66:67] op_sel:[1,0]
	v_mov_b32_e32 v53, v43
	v_pk_mul_f32 v[8:9], v[8:9], v[62:63] op_sel_hi:[0,1]
	v_mov_b32_e32 v61, v15
	v_pk_fma_f32 v[14:15], v[6:7], v[66:67], v[12:13] op_sel:[0,0,1] op_sel_hi:[1,1,0] neg_lo:[0,0,1] neg_hi:[0,0,1]
	v_mov_b32_e32 v6, v11
	v_lshl_add_u64 v[20:21], v[20:21], 3, v[0:1]
	v_lshl_add_u64 v[22:23], v[22:23], 3, v[0:1]
	v_lshl_add_u64 v[24:25], v[24:25], 3, v[0:1]
	v_lshl_add_u64 v[26:27], v[26:27], 3, v[0:1]
	v_lshl_add_u64 v[28:29], v[28:29], 3, v[0:1]
	v_lshl_add_u64 v[0:1], v[44:45], 3, v[0:1]
	v_pk_add_f32 v[42:43], v[52:53], v[70:71]
	v_pk_add_f32 v[44:45], v[70:71], v[52:53] neg_lo:[0,1] neg_hi:[0,1]
	v_pk_fma_f32 v[48:49], v[2:3], v[62:63], v[8:9] op_sel:[0,0,1] op_sel_hi:[1,1,0] neg_lo:[0,0,1] neg_hi:[0,0,1]
	v_pk_fma_f32 v[2:3], v[2:3], v[62:63], v[8:9] op_sel:[0,0,1] op_sel_hi:[0,1,0]
	v_pk_add_f32 v[70:71], v[6:7], v[70:71]
	v_mov_b32_e32 v49, v3
	v_pk_add_f32 v[70:71], v[70:71], v[72:73]
	v_pk_add_f32 v[2:3], v[48:49], v[56:57]
	v_pk_add_f32 v[8:9], v[56:57], v[48:49] neg_lo:[0,1] neg_hi:[0,1]
	v_mov_b32_e32 v51, v19
	s_mov_b32 s16, 0xbf0a6770
	v_pk_add_f32 v[56:57], v[70:71], v[56:57]
	v_mov_b32_e32 v55, v5
	v_pk_add_f32 v[18:19], v[50:51], v[38:39]
	v_pk_add_f32 v[34:35], v[38:39], v[50:51] neg_lo:[0,1] neg_hi:[0,1]
	v_pk_fma_f32 v[12:13], v[10:11], v[66:67], v[12:13] op_sel:[0,0,1] op_sel_hi:[0,1,0]
	s_mov_b32 s6, 0x3f575c64
	v_pk_mul_f32 v[58:59], v[44:45], s[16:17] op_sel:[1,0] op_sel_hi:[0,0]
	v_pk_add_f32 v[38:39], v[56:57], v[38:39]
	v_pk_add_f32 v[16:17], v[72:73], v[54:55] neg_lo:[0,1] neg_hi:[0,1]
	v_mov_b32_e32 v15, v13
	s_mov_b32 s18, 0xbf68dda4
	v_pk_fma_f32 v[76:77], v[42:43], s[6:7], v[58:59] op_sel_hi:[1,0,1]
	v_pk_fma_f32 v[58:59], v[42:43], s[6:7], v[58:59] op_sel_hi:[1,0,1] neg_lo:[0,0,1] neg_hi:[0,0,1]
	v_pk_add_f32 v[38:39], v[38:39], v[60:61]
	v_pk_add_f32 v[4:5], v[54:55], v[72:73]
	;; [unrolled: 1-line block ×3, first 2 shown]
	v_pk_add_f32 v[32:33], v[60:61], v[14:15] neg_lo:[0,1] neg_hi:[0,1]
	s_mov_b32 s2, 0x3ed4b147
	v_pk_mul_f32 v[62:63], v[16:17], s[18:19] op_sel:[1,0] op_sel_hi:[0,0]
	v_mov_b32_e32 v78, v76
	v_mov_b32_e32 v79, v59
	v_pk_add_f32 v[14:15], v[14:15], v[38:39]
	s_mov_b32 s4, 0xbf7d64f0
	v_pk_add_f32 v[10:11], v[6:7], v[78:79]
	v_pk_fma_f32 v[78:79], v[4:5], s[2:3], v[62:63] op_sel_hi:[1,0,1]
	v_pk_fma_f32 v[62:63], v[4:5], s[2:3], v[62:63] op_sel_hi:[1,0,1] neg_lo:[0,0,1] neg_hi:[0,0,1]
	v_pk_add_f32 v[14:15], v[50:51], v[14:15]
	s_mov_b32 s0, 0xbe11bafb
	v_pk_mul_f32 v[64:65], v[8:9], s[4:5] op_sel:[1,0] op_sel_hi:[0,0]
	v_mov_b32_e32 v80, v78
	v_mov_b32_e32 v81, v63
	v_pk_add_f32 v[14:15], v[48:49], v[14:15]
	s_mov_b32 s10, 0xbf4178ce
	v_pk_add_f32 v[10:11], v[10:11], v[80:81]
	v_pk_fma_f32 v[80:81], v[2:3], s[0:1], v[64:65] op_sel_hi:[1,0,1]
	v_pk_fma_f32 v[64:65], v[2:3], s[0:1], v[64:65] op_sel_hi:[1,0,1] neg_lo:[0,0,1] neg_hi:[0,0,1]
	v_pk_add_f32 v[14:15], v[54:55], v[14:15]
	s_mov_b32 s8, 0xbf27a4f4
	v_pk_mul_f32 v[66:67], v[34:35], s[10:11] op_sel:[1,0] op_sel_hi:[0,0]
	v_mov_b32_e32 v82, v80
	v_mov_b32_e32 v83, v65
	v_pk_add_f32 v[14:15], v[52:53], v[14:15]
	v_mov_b32_e32 v59, v77
	s_mov_b32 s14, 0xbe903f40
	v_pk_add_f32 v[10:11], v[10:11], v[82:83]
	v_pk_fma_f32 v[82:83], v[18:19], s[8:9], v[66:67] op_sel_hi:[1,0,1]
	v_pk_fma_f32 v[66:67], v[18:19], s[8:9], v[66:67] op_sel_hi:[1,0,1] neg_lo:[0,0,1] neg_hi:[0,0,1]
	global_store_dwordx2 v[40:41], v[14:15], off
	v_pk_add_f32 v[14:15], v[6:7], v[58:59]
	v_mov_b32_e32 v63, v79
	s_mov_b32 s12, 0xbf75a155
	v_pk_mul_f32 v[74:75], v[32:33], s[14:15] op_sel:[1,0] op_sel_hi:[0,0]
	v_mov_b32_e32 v84, v82
	v_mov_b32_e32 v85, v67
	v_pk_add_f32 v[14:15], v[14:15], v[62:63]
	v_mov_b32_e32 v65, v81
	v_pk_add_f32 v[10:11], v[10:11], v[84:85]
	v_pk_fma_f32 v[84:85], v[12:13], s[12:13], v[74:75] op_sel_hi:[1,0,1]
	v_pk_fma_f32 v[74:75], v[12:13], s[12:13], v[74:75] op_sel_hi:[1,0,1] neg_lo:[0,0,1] neg_hi:[0,0,1]
	v_pk_add_f32 v[14:15], v[14:15], v[64:65]
	v_mov_b32_e32 v67, v83
	v_mov_b32_e32 v87, v75
	v_pk_add_f32 v[14:15], v[14:15], v[66:67]
	v_mov_b32_e32 v75, v85
	v_pk_add_f32 v[14:15], v[14:15], v[74:75]
	global_store_dwordx2 v[68:69], v[14:15], off
	v_pk_mul_f32 v[14:15], v[44:45], s[18:19] op_sel:[1,0] op_sel_hi:[0,0]
	v_pk_mul_f32 v[38:39], v[16:17], s[10:11] op_sel:[1,0] op_sel_hi:[0,0]
	v_pk_fma_f32 v[52:53], v[42:43], s[2:3], v[14:15] op_sel_hi:[1,0,1]
	v_pk_fma_f32 v[14:15], v[42:43], s[2:3], v[14:15] op_sel_hi:[1,0,1] neg_lo:[0,0,1] neg_hi:[0,0,1]
	s_mov_b32 s22, 0x3e903f40
	v_mov_b32_e32 v54, v52
	v_mov_b32_e32 v55, v15
	v_pk_fma_f32 v[56:57], v[4:5], s[8:9], v[38:39] op_sel_hi:[1,0,1]
	v_pk_fma_f32 v[38:39], v[4:5], s[8:9], v[38:39] op_sel_hi:[1,0,1] neg_lo:[0,0,1] neg_hi:[0,0,1]
	v_pk_mul_f32 v[40:41], v[8:9], s[22:23] op_sel:[1,0] op_sel_hi:[0,0]
	v_pk_add_f32 v[54:55], v[6:7], v[54:55]
	v_mov_b32_e32 v58, v56
	v_mov_b32_e32 v59, v39
	s_mov_b32 s20, 0x3f7d64f0
	v_pk_add_f32 v[54:55], v[54:55], v[58:59]
	v_pk_fma_f32 v[58:59], v[2:3], s[12:13], v[40:41] op_sel_hi:[1,0,1]
	v_pk_fma_f32 v[40:41], v[2:3], s[12:13], v[40:41] op_sel_hi:[1,0,1] neg_lo:[0,0,1] neg_hi:[0,0,1]
	v_pk_mul_f32 v[48:49], v[34:35], s[20:21] op_sel:[1,0] op_sel_hi:[0,0]
	v_mov_b32_e32 v60, v58
	v_mov_b32_e32 v61, v41
	v_mov_b32_e32 v15, v53
	s_mov_b32 s18, 0x3f0a6770
	v_pk_add_f32 v[54:55], v[54:55], v[60:61]
	v_pk_fma_f32 v[60:61], v[18:19], s[0:1], v[48:49] op_sel_hi:[1,0,1]
	v_pk_fma_f32 v[48:49], v[18:19], s[0:1], v[48:49] op_sel_hi:[1,0,1] neg_lo:[0,0,1] neg_hi:[0,0,1]
	v_pk_add_f32 v[14:15], v[6:7], v[14:15]
	v_mov_b32_e32 v39, v57
	v_pk_mul_f32 v[50:51], v[32:33], s[18:19] op_sel:[1,0] op_sel_hi:[0,0]
	v_mov_b32_e32 v62, v60
	v_mov_b32_e32 v63, v49
	v_pk_add_f32 v[14:15], v[14:15], v[38:39]
	v_mov_b32_e32 v41, v59
	v_pk_add_f32 v[54:55], v[54:55], v[62:63]
	v_pk_fma_f32 v[62:63], v[12:13], s[6:7], v[50:51] op_sel_hi:[1,0,1]
	v_pk_fma_f32 v[50:51], v[12:13], s[6:7], v[50:51] op_sel_hi:[1,0,1] neg_lo:[0,0,1] neg_hi:[0,0,1]
	v_pk_add_f32 v[14:15], v[14:15], v[40:41]
	v_mov_b32_e32 v49, v61
	v_mov_b32_e32 v65, v51
	v_pk_add_f32 v[14:15], v[14:15], v[48:49]
	v_mov_b32_e32 v51, v63
	v_pk_add_f32 v[14:15], v[14:15], v[50:51]
	global_store_dwordx2 v[46:47], v[14:15], off
	v_pk_mul_f32 v[14:15], v[44:45], s[4:5] op_sel:[1,0] op_sel_hi:[0,0]
	v_pk_fma_f32 v[38:39], v[42:43], s[0:1], v[14:15] op_sel_hi:[1,0,1]
	v_pk_fma_f32 v[14:15], v[42:43], s[0:1], v[14:15] op_sel_hi:[1,0,1] neg_lo:[0,0,1] neg_hi:[0,0,1]
	v_pk_mul_f32 v[46:47], v[16:17], s[22:23] op_sel:[1,0] op_sel_hi:[0,0]
	v_mov_b32_e32 v40, v38
	v_mov_b32_e32 v41, v15
	v_pk_fma_f32 v[48:49], v[4:5], s[12:13], v[46:47] op_sel_hi:[1,0,1]
	v_pk_fma_f32 v[46:47], v[4:5], s[12:13], v[46:47] op_sel_hi:[1,0,1] neg_lo:[0,0,1] neg_hi:[0,0,1]
	v_pk_add_f32 v[40:41], v[6:7], v[40:41]
	v_mov_b32_e32 v50, v48
	v_mov_b32_e32 v51, v47
	s_mov_b32 s22, 0x3f68dda4
	v_pk_add_f32 v[40:41], v[40:41], v[50:51]
	v_pk_mul_f32 v[50:51], v[8:9], s[22:23] op_sel:[1,0] op_sel_hi:[0,0]
	v_pk_fma_f32 v[52:53], v[2:3], s[2:3], v[50:51] op_sel_hi:[1,0,1]
	v_pk_fma_f32 v[50:51], v[2:3], s[2:3], v[50:51] op_sel_hi:[1,0,1] neg_lo:[0,0,1] neg_hi:[0,0,1]
	v_mov_b32_e32 v56, v52
	v_mov_b32_e32 v57, v51
	v_pk_add_f32 v[40:41], v[40:41], v[56:57]
	v_pk_mul_f32 v[56:57], v[34:35], s[16:17] op_sel:[1,0] op_sel_hi:[0,0]
	v_pk_fma_f32 v[58:59], v[18:19], s[6:7], v[56:57] op_sel_hi:[1,0,1]
	v_pk_fma_f32 v[56:57], v[18:19], s[6:7], v[56:57] op_sel_hi:[1,0,1] neg_lo:[0,0,1] neg_hi:[0,0,1]
	v_mov_b32_e32 v15, v39
	v_mov_b32_e32 v60, v58
	;; [unrolled: 1-line block ×3, first 2 shown]
	v_pk_add_f32 v[14:15], v[6:7], v[14:15]
	v_mov_b32_e32 v47, v49
	v_pk_add_f32 v[40:41], v[40:41], v[60:61]
	v_pk_mul_f32 v[60:61], v[32:33], s[10:11] op_sel:[1,0] op_sel_hi:[0,0]
	v_pk_add_f32 v[14:15], v[14:15], v[46:47]
	v_mov_b32_e32 v51, v53
	v_mov_b32_e32 v64, v62
	v_pk_fma_f32 v[62:63], v[12:13], s[8:9], v[60:61] op_sel_hi:[1,0,1]
	v_pk_fma_f32 v[60:61], v[12:13], s[8:9], v[60:61] op_sel_hi:[1,0,1] neg_lo:[0,0,1] neg_hi:[0,0,1]
	v_pk_add_f32 v[14:15], v[14:15], v[50:51]
	v_mov_b32_e32 v57, v59
	v_pk_add_f32 v[54:55], v[54:55], v[64:65]
	v_mov_b32_e32 v65, v61
	;; [unrolled: 2-line block ×3, first 2 shown]
	v_pk_add_f32 v[14:15], v[14:15], v[60:61]
	global_store_dwordx2 v[36:37], v[14:15], off
	v_pk_mul_f32 v[14:15], v[44:45], s[10:11] op_sel:[1,0] op_sel_hi:[0,0]
	v_pk_fma_f32 v[36:37], v[42:43], s[8:9], v[14:15] op_sel_hi:[1,0,1]
	v_pk_fma_f32 v[14:15], v[42:43], s[8:9], v[14:15] op_sel_hi:[1,0,1] neg_lo:[0,0,1] neg_hi:[0,0,1]
	v_pk_mul_f32 v[46:47], v[16:17], s[20:21] op_sel:[1,0] op_sel_hi:[0,0]
	v_mov_b32_e32 v38, v36
	v_mov_b32_e32 v39, v15
	v_pk_fma_f32 v[48:49], v[4:5], s[0:1], v[46:47] op_sel_hi:[1,0,1]
	v_pk_fma_f32 v[46:47], v[4:5], s[0:1], v[46:47] op_sel_hi:[1,0,1] neg_lo:[0,0,1] neg_hi:[0,0,1]
	v_pk_add_f32 v[38:39], v[6:7], v[38:39]
	v_mov_b32_e32 v50, v48
	v_mov_b32_e32 v51, v47
	v_pk_add_f32 v[38:39], v[38:39], v[50:51]
	v_pk_mul_f32 v[50:51], v[8:9], s[16:17] op_sel:[1,0] op_sel_hi:[0,0]
	v_pk_fma_f32 v[52:53], v[2:3], s[6:7], v[50:51] op_sel_hi:[1,0,1]
	v_pk_fma_f32 v[50:51], v[2:3], s[6:7], v[50:51] op_sel_hi:[1,0,1] neg_lo:[0,0,1] neg_hi:[0,0,1]
	v_mov_b32_e32 v56, v52
	v_mov_b32_e32 v57, v51
	v_pk_add_f32 v[38:39], v[38:39], v[56:57]
	v_pk_mul_f32 v[56:57], v[34:35], s[14:15] op_sel:[1,0] op_sel_hi:[0,0]
	v_pk_fma_f32 v[58:59], v[18:19], s[12:13], v[56:57] op_sel_hi:[1,0,1]
	v_pk_fma_f32 v[56:57], v[18:19], s[12:13], v[56:57] op_sel_hi:[1,0,1] neg_lo:[0,0,1] neg_hi:[0,0,1]
	v_mov_b32_e32 v15, v37
	v_mov_b32_e32 v60, v58
	;; [unrolled: 1-line block ×3, first 2 shown]
	v_pk_add_f32 v[14:15], v[6:7], v[14:15]
	v_mov_b32_e32 v47, v49
	v_pk_add_f32 v[38:39], v[38:39], v[60:61]
	v_pk_mul_f32 v[60:61], v[32:33], s[22:23] op_sel:[1,0] op_sel_hi:[0,0]
	v_pk_add_f32 v[14:15], v[14:15], v[46:47]
	v_mov_b32_e32 v51, v53
	v_mov_b32_e32 v64, v62
	v_pk_fma_f32 v[62:63], v[12:13], s[2:3], v[60:61] op_sel_hi:[1,0,1]
	v_pk_fma_f32 v[60:61], v[12:13], s[2:3], v[60:61] op_sel_hi:[1,0,1] neg_lo:[0,0,1] neg_hi:[0,0,1]
	v_pk_add_f32 v[14:15], v[14:15], v[50:51]
	v_mov_b32_e32 v57, v59
	v_pk_add_f32 v[40:41], v[40:41], v[64:65]
	v_mov_b32_e32 v65, v61
	;; [unrolled: 2-line block ×3, first 2 shown]
	v_pk_add_f32 v[14:15], v[14:15], v[60:61]
	global_store_dwordx2 v[30:31], v[14:15], off
	v_pk_mul_f32 v[14:15], v[44:45], s[14:15] op_sel:[1,0] op_sel_hi:[0,0]
	v_pk_fma_f32 v[30:31], v[42:43], s[12:13], v[14:15] op_sel_hi:[1,0,1]
	v_pk_fma_f32 v[14:15], v[42:43], s[12:13], v[14:15] op_sel_hi:[1,0,1] neg_lo:[0,0,1] neg_hi:[0,0,1]
	v_pk_mul_f32 v[16:17], v[16:17], s[18:19] op_sel:[1,0] op_sel_hi:[0,0]
	v_mov_b32_e32 v36, v30
	v_mov_b32_e32 v37, v15
	v_pk_fma_f32 v[42:43], v[4:5], s[6:7], v[16:17] op_sel_hi:[1,0,1]
	v_pk_fma_f32 v[4:5], v[4:5], s[6:7], v[16:17] op_sel_hi:[1,0,1] neg_lo:[0,0,1] neg_hi:[0,0,1]
	v_pk_add_f32 v[36:37], v[6:7], v[36:37]
	v_mov_b32_e32 v16, v42
	v_mov_b32_e32 v17, v5
	v_pk_mul_f32 v[8:9], v[8:9], s[10:11] op_sel:[1,0] op_sel_hi:[0,0]
	v_pk_add_f32 v[16:17], v[36:37], v[16:17]
	v_pk_fma_f32 v[36:37], v[2:3], s[8:9], v[8:9] op_sel_hi:[1,0,1]
	v_pk_fma_f32 v[2:3], v[2:3], s[8:9], v[8:9] op_sel_hi:[1,0,1] neg_lo:[0,0,1] neg_hi:[0,0,1]
	v_mov_b32_e32 v8, v36
	v_mov_b32_e32 v9, v3
	v_pk_add_f32 v[8:9], v[16:17], v[8:9]
	v_pk_mul_f32 v[16:17], v[34:35], s[22:23] op_sel:[1,0] op_sel_hi:[0,0]
	v_pk_fma_f32 v[34:35], v[18:19], s[2:3], v[16:17] op_sel_hi:[1,0,1]
	v_pk_fma_f32 v[16:17], v[18:19], s[2:3], v[16:17] op_sel_hi:[1,0,1] neg_lo:[0,0,1] neg_hi:[0,0,1]
	v_mov_b32_e32 v15, v31
	v_mov_b32_e32 v18, v34
	;; [unrolled: 1-line block ×3, first 2 shown]
	v_pk_add_f32 v[6:7], v[6:7], v[14:15]
	v_mov_b32_e32 v5, v43
	v_pk_add_f32 v[8:9], v[8:9], v[18:19]
	v_pk_mul_f32 v[18:19], v[32:33], s[4:5] op_sel:[1,0] op_sel_hi:[0,0]
	v_pk_add_f32 v[4:5], v[6:7], v[4:5]
	v_mov_b32_e32 v3, v37
	v_pk_fma_f32 v[32:33], v[12:13], s[0:1], v[18:19] op_sel_hi:[1,0,1]
	v_pk_fma_f32 v[12:13], v[12:13], s[0:1], v[18:19] op_sel_hi:[1,0,1] neg_lo:[0,0,1] neg_hi:[0,0,1]
	v_pk_add_f32 v[2:3], v[4:5], v[2:3]
	v_mov_b32_e32 v17, v35
	v_mov_b32_e32 v19, v13
	v_pk_add_f32 v[2:3], v[2:3], v[16:17]
	v_mov_b32_e32 v13, v33
	v_mov_b32_e32 v86, v84
	;; [unrolled: 1-line block ×4, first 2 shown]
	v_pk_add_f32 v[2:3], v[2:3], v[12:13]
	v_pk_add_f32 v[10:11], v[10:11], v[86:87]
	;; [unrolled: 1-line block ×4, first 2 shown]
	global_store_dwordx2 v[20:21], v[2:3], off
	global_store_dwordx2 v[22:23], v[8:9], off
	;; [unrolled: 1-line block ×6, first 2 shown]
	s_endpgm
	.section	.rodata,"a",@progbits
	.p2align	6, 0x0
	.amdhsa_kernel fft_rtc_fwd_len1496_factors_17_8_11_wgs_187_tpt_187_halfLds_sp_ip_CI_sbrr_dirReg
		.amdhsa_group_segment_fixed_size 0
		.amdhsa_private_segment_fixed_size 0
		.amdhsa_kernarg_size 88
		.amdhsa_user_sgpr_count 2
		.amdhsa_user_sgpr_dispatch_ptr 0
		.amdhsa_user_sgpr_queue_ptr 0
		.amdhsa_user_sgpr_kernarg_segment_ptr 1
		.amdhsa_user_sgpr_dispatch_id 0
		.amdhsa_user_sgpr_kernarg_preload_length 0
		.amdhsa_user_sgpr_kernarg_preload_offset 0
		.amdhsa_user_sgpr_private_segment_size 0
		.amdhsa_uses_dynamic_stack 0
		.amdhsa_enable_private_segment 0
		.amdhsa_system_sgpr_workgroup_id_x 1
		.amdhsa_system_sgpr_workgroup_id_y 0
		.amdhsa_system_sgpr_workgroup_id_z 0
		.amdhsa_system_sgpr_workgroup_info 0
		.amdhsa_system_vgpr_workitem_id 0
		.amdhsa_next_free_vgpr 154
		.amdhsa_next_free_sgpr 70
		.amdhsa_accum_offset 156
		.amdhsa_reserve_vcc 1
		.amdhsa_float_round_mode_32 0
		.amdhsa_float_round_mode_16_64 0
		.amdhsa_float_denorm_mode_32 3
		.amdhsa_float_denorm_mode_16_64 3
		.amdhsa_dx10_clamp 1
		.amdhsa_ieee_mode 1
		.amdhsa_fp16_overflow 0
		.amdhsa_tg_split 0
		.amdhsa_exception_fp_ieee_invalid_op 0
		.amdhsa_exception_fp_denorm_src 0
		.amdhsa_exception_fp_ieee_div_zero 0
		.amdhsa_exception_fp_ieee_overflow 0
		.amdhsa_exception_fp_ieee_underflow 0
		.amdhsa_exception_fp_ieee_inexact 0
		.amdhsa_exception_int_div_zero 0
	.end_amdhsa_kernel
	.text
.Lfunc_end0:
	.size	fft_rtc_fwd_len1496_factors_17_8_11_wgs_187_tpt_187_halfLds_sp_ip_CI_sbrr_dirReg, .Lfunc_end0-fft_rtc_fwd_len1496_factors_17_8_11_wgs_187_tpt_187_halfLds_sp_ip_CI_sbrr_dirReg
                                        ; -- End function
	.section	.AMDGPU.csdata,"",@progbits
; Kernel info:
; codeLenInByte = 11692
; NumSgprs: 76
; NumVgprs: 154
; NumAgprs: 0
; TotalNumVgprs: 154
; ScratchSize: 0
; MemoryBound: 0
; FloatMode: 240
; IeeeMode: 1
; LDSByteSize: 0 bytes/workgroup (compile time only)
; SGPRBlocks: 9
; VGPRBlocks: 19
; NumSGPRsForWavesPerEU: 76
; NumVGPRsForWavesPerEU: 154
; AccumOffset: 156
; Occupancy: 3
; WaveLimiterHint : 1
; COMPUTE_PGM_RSRC2:SCRATCH_EN: 0
; COMPUTE_PGM_RSRC2:USER_SGPR: 2
; COMPUTE_PGM_RSRC2:TRAP_HANDLER: 0
; COMPUTE_PGM_RSRC2:TGID_X_EN: 1
; COMPUTE_PGM_RSRC2:TGID_Y_EN: 0
; COMPUTE_PGM_RSRC2:TGID_Z_EN: 0
; COMPUTE_PGM_RSRC2:TIDIG_COMP_CNT: 0
; COMPUTE_PGM_RSRC3_GFX90A:ACCUM_OFFSET: 38
; COMPUTE_PGM_RSRC3_GFX90A:TG_SPLIT: 0
	.text
	.p2alignl 6, 3212836864
	.fill 256, 4, 3212836864
	.type	__hip_cuid_719c14cd9317b3d1,@object ; @__hip_cuid_719c14cd9317b3d1
	.section	.bss,"aw",@nobits
	.globl	__hip_cuid_719c14cd9317b3d1
__hip_cuid_719c14cd9317b3d1:
	.byte	0                               ; 0x0
	.size	__hip_cuid_719c14cd9317b3d1, 1

	.ident	"AMD clang version 19.0.0git (https://github.com/RadeonOpenCompute/llvm-project roc-6.4.0 25133 c7fe45cf4b819c5991fe208aaa96edf142730f1d)"
	.section	".note.GNU-stack","",@progbits
	.addrsig
	.addrsig_sym __hip_cuid_719c14cd9317b3d1
	.amdgpu_metadata
---
amdhsa.kernels:
  - .agpr_count:     0
    .args:
      - .actual_access:  read_only
        .address_space:  global
        .offset:         0
        .size:           8
        .value_kind:     global_buffer
      - .offset:         8
        .size:           8
        .value_kind:     by_value
      - .actual_access:  read_only
        .address_space:  global
        .offset:         16
        .size:           8
        .value_kind:     global_buffer
      - .actual_access:  read_only
        .address_space:  global
        .offset:         24
        .size:           8
        .value_kind:     global_buffer
      - .offset:         32
        .size:           8
        .value_kind:     by_value
      - .actual_access:  read_only
        .address_space:  global
        .offset:         40
        .size:           8
        .value_kind:     global_buffer
      - .actual_access:  read_only
        .address_space:  global
        .offset:         48
        .size:           8
        .value_kind:     global_buffer
      - .offset:         56
        .size:           4
        .value_kind:     by_value
      - .actual_access:  read_only
        .address_space:  global
        .offset:         64
        .size:           8
        .value_kind:     global_buffer
      - .actual_access:  read_only
        .address_space:  global
        .offset:         72
        .size:           8
        .value_kind:     global_buffer
      - .address_space:  global
        .offset:         80
        .size:           8
        .value_kind:     global_buffer
    .group_segment_fixed_size: 0
    .kernarg_segment_align: 8
    .kernarg_segment_size: 88
    .language:       OpenCL C
    .language_version:
      - 2
      - 0
    .max_flat_workgroup_size: 187
    .name:           fft_rtc_fwd_len1496_factors_17_8_11_wgs_187_tpt_187_halfLds_sp_ip_CI_sbrr_dirReg
    .private_segment_fixed_size: 0
    .sgpr_count:     76
    .sgpr_spill_count: 0
    .symbol:         fft_rtc_fwd_len1496_factors_17_8_11_wgs_187_tpt_187_halfLds_sp_ip_CI_sbrr_dirReg.kd
    .uniform_work_group_size: 1
    .uses_dynamic_stack: false
    .vgpr_count:     154
    .vgpr_spill_count: 0
    .wavefront_size: 64
amdhsa.target:   amdgcn-amd-amdhsa--gfx950
amdhsa.version:
  - 1
  - 2
...

	.end_amdgpu_metadata
